;; amdgpu-corpus repo=ROCm/rocFFT kind=compiled arch=gfx1030 opt=O3
	.text
	.amdgcn_target "amdgcn-amd-amdhsa--gfx1030"
	.amdhsa_code_object_version 6
	.protected	bluestein_single_back_len936_dim1_half_op_CI_CI ; -- Begin function bluestein_single_back_len936_dim1_half_op_CI_CI
	.globl	bluestein_single_back_len936_dim1_half_op_CI_CI
	.p2align	8
	.type	bluestein_single_back_len936_dim1_half_op_CI_CI,@function
bluestein_single_back_len936_dim1_half_op_CI_CI: ; @bluestein_single_back_len936_dim1_half_op_CI_CI
; %bb.0:
	s_load_dwordx4 s[8:11], s[4:5], 0x28
	v_mul_u32_u24_e32 v1, 0x349, v0
	v_lshrrev_b32_e32 v1, 16, v1
	v_mad_u64_u32 v[12:13], null, s6, 3, v[1:2]
	v_mov_b32_e32 v13, 0
                                        ; kill: def $vgpr2 killed $sgpr0 killed $exec
	s_mov_b32 s0, exec_lo
	s_waitcnt lgkmcnt(0)
	v_cmpx_gt_u64_e64 s[8:9], v[12:13]
	s_cbranch_execz .LBB0_10
; %bb.1:
	s_clause 0x1
	s_load_dwordx4 s[0:3], s[4:5], 0x18
	s_load_dwordx4 s[12:15], s[4:5], 0x0
	v_mul_lo_u16 v1, 0x4e, v1
                                        ; implicit-def: $vgpr88
                                        ; implicit-def: $vgpr89
	v_sub_nc_u16 v0, v0, v1
	v_and_b32_e32 v51, 0xffff, v0
	v_lshlrev_b32_e32 v8, 2, v51
	v_add_co_u32 v36, null, 0xea, v51
	s_waitcnt lgkmcnt(0)
	s_load_dwordx4 s[16:19], s[0:1], 0x0
	v_lshlrev_b32_e32 v39, 1, v51
	s_clause 0x2
	global_load_dword v53, v8, s[12:13] offset:1872
	global_load_dword v54, v8, s[12:13]
	global_load_dword v52, v8, s[12:13] offset:312
	s_waitcnt lgkmcnt(0)
	v_mad_u64_u32 v[1:2], null, s18, v12, 0
	v_mad_u64_u32 v[3:4], null, s16, v51, 0
	s_mul_hi_u32 s1, s16, 0x750
	s_mul_i32 s6, s16, 0x750
	s_mul_hi_u32 s8, s16, 0xfffff9e8
	s_mul_i32 s7, s17, 0xfffff9e8
	v_mad_u64_u32 v[5:6], null, s19, v12, v[2:3]
	v_mad_u64_u32 v[6:7], null, s17, v51, v[4:5]
	v_mov_b32_e32 v2, v5
	v_add_co_u32 v7, s0, s12, v8
	v_add_co_ci_u32_e64 v9, null, s13, 0, s0
	v_lshlrev_b64 v[1:2], 2, v[1:2]
	v_mov_b32_e32 v4, v6
	s_mul_i32 s0, s17, 0x750
	s_add_i32 s1, s1, s0
	s_sub_i32 s0, s8, s16
	v_lshlrev_b64 v[3:4], 2, v[3:4]
	v_add_co_u32 v1, vcc_lo, s10, v1
	v_add_co_ci_u32_e32 v2, vcc_lo, s11, v2, vcc_lo
	s_mul_i32 s8, s16, 0xfffff9e8
	v_add_co_u32 v1, vcc_lo, v1, v3
	v_add_co_ci_u32_e32 v2, vcc_lo, v2, v4, vcc_lo
	s_add_i32 s0, s0, s7
	v_add_co_u32 v3, vcc_lo, v1, s6
	v_add_co_ci_u32_e32 v4, vcc_lo, s1, v2, vcc_lo
	s_clause 0x1
	global_load_dword v10, v[1:2], off
	global_load_dword v11, v[3:4], off
	v_add_co_u32 v1, vcc_lo, v3, s8
	v_add_co_ci_u32_e32 v2, vcc_lo, s0, v4, vcc_lo
	v_add_co_u32 v3, vcc_lo, 0x800, v7
	v_add_co_ci_u32_e32 v4, vcc_lo, 0, v9, vcc_lo
	global_load_dword v7, v[1:2], off
	v_add_co_u32 v1, vcc_lo, v1, s6
	v_add_co_ci_u32_e32 v2, vcc_lo, s1, v2, vcc_lo
	global_load_dword v49, v[3:4], off offset:136
	v_add_co_u32 v5, vcc_lo, v1, s8
	v_add_co_ci_u32_e32 v6, vcc_lo, s0, v2, vcc_lo
	global_load_dword v9, v[1:2], off
	v_add_co_u32 v1, vcc_lo, v5, s6
	v_add_co_ci_u32_e32 v2, vcc_lo, s1, v6, vcc_lo
	global_load_dword v13, v[5:6], off
	s_clause 0x2
	global_load_dword v48, v8, s[12:13] offset:624
	global_load_dword v46, v8, s[12:13] offset:936
	;; [unrolled: 1-line block ×3, first 2 shown]
	global_load_dword v14, v[1:2], off
	v_add_co_u32 v1, vcc_lo, v1, s8
	v_add_co_ci_u32_e32 v2, vcc_lo, s0, v2, vcc_lo
	s_clause 0x1
	global_load_dword v47, v[3:4], off offset:448
	global_load_dword v45, v[3:4], off offset:760
	v_add_co_u32 v5, vcc_lo, v1, s6
	v_add_co_ci_u32_e32 v6, vcc_lo, s1, v2, vcc_lo
	global_load_dword v15, v[1:2], off
	v_add_co_u32 v1, vcc_lo, v5, s8
	v_add_co_ci_u32_e32 v2, vcc_lo, s0, v6, vcc_lo
	global_load_dword v16, v[5:6], off
	;; [unrolled: 3-line block ×4, first 2 shown]
	v_add_co_u32 v5, vcc_lo, v1, s6
	v_add_co_ci_u32_e32 v6, vcc_lo, s1, v2, vcc_lo
	global_load_dword v43, v[3:4], off offset:1072
	global_load_dword v19, v[1:2], off
	global_load_dword v5, v[5:6], off
	s_clause 0x1
	global_load_dword v42, v8, s[12:13] offset:1560
	global_load_dword v41, v[3:4], off offset:1384
	v_mul_hi_u32 v1, 0xaaaaaaab, v12
	v_add_co_u32 v26, s0, 0x4e, v51
	v_add_co_ci_u32_e64 v27, null, 0, 0, s0
	v_add_co_u32 v25, s0, 0x9c, v51
	s_load_dwordx4 s[8:11], s[2:3], 0x0
	v_lshrrev_b32_e32 v1, 1, v1
	v_cmp_gt_u16_e32 vcc_lo, 0x48, v0
	s_load_dwordx2 s[2:3], s[4:5], 0x38
	v_lshl_add_u32 v1, v1, 1, v1
	v_sub_nc_u32_e32 v1, v12, v1
	v_mul_u32_u24_e32 v1, 0x3a8, v1
	v_lshlrev_b32_e32 v55, 2, v1
	v_add_co_ci_u32_e64 v1, null, 0, 0, s0
	v_add_co_u32 v37, s0, 0x138, v51
	v_add_nc_u32_e32 v50, v8, v55
	v_add_co_ci_u32_e64 v1, null, 0, 0, s0
	v_add_co_u32 v38, s0, 0x186, v51
	v_add_nc_u32_e32 v2, 0x800, v50
	v_add_nc_u32_e32 v22, 0x600, v50
	;; [unrolled: 1-line block ×5, first 2 shown]
	v_lshl_add_u32 v35, v51, 3, v55
	v_lshl_add_u32 v34, v26, 3, v55
	v_lshl_add_u32 v33, v25, 3, v55
	v_lshl_add_u32 v32, v36, 3, v55
	v_lshl_add_u32 v31, v37, 3, v55
	v_lshl_add_u32 v30, v38, 3, v55
	s_waitcnt vmcnt(20)
	v_lshrrev_b32_e32 v4, 16, v10
	v_mul_f16_sdwa v6, v54, v10 dst_sel:DWORD dst_unused:UNUSED_PAD src0_sel:WORD_1 src1_sel:DWORD
	s_waitcnt vmcnt(19)
	v_lshrrev_b32_e32 v20, 16, v11
	v_mul_f16_sdwa v21, v53, v11 dst_sel:DWORD dst_unused:UNUSED_PAD src0_sel:WORD_1 src1_sel:DWORD
	v_mul_f16_sdwa v8, v54, v4 dst_sel:DWORD dst_unused:UNUSED_PAD src0_sel:WORD_1 src1_sel:DWORD
	v_fma_f16 v4, v54, v4, -v6
	v_mul_f16_sdwa v6, v53, v20 dst_sel:DWORD dst_unused:UNUSED_PAD src0_sel:WORD_1 src1_sel:DWORD
	v_fma_f16 v20, v53, v20, -v21
	v_fmac_f16_e32 v8, v54, v10
	s_waitcnt vmcnt(18)
	v_lshrrev_b32_e32 v10, 16, v7
	v_mul_f16_sdwa v21, v52, v7 dst_sel:DWORD dst_unused:UNUSED_PAD src0_sel:WORD_1 src1_sel:DWORD
	v_fmac_f16_e32 v6, v53, v11
	v_pack_b32_f16 v4, v8, v4
	v_mul_f16_sdwa v8, v52, v10 dst_sel:DWORD dst_unused:UNUSED_PAD src0_sel:WORD_1 src1_sel:DWORD
	v_fma_f16 v10, v52, v10, -v21
	v_pack_b32_f16 v6, v6, v20
	s_waitcnt vmcnt(16)
	v_lshrrev_b32_e32 v11, 16, v9
	v_mul_f16_sdwa v24, v49, v9 dst_sel:DWORD dst_unused:UNUSED_PAD src0_sel:WORD_1 src1_sel:DWORD
	v_fmac_f16_e32 v8, v52, v7
	s_waitcnt vmcnt(15)
	v_lshrrev_b32_e32 v20, 16, v13
	s_waitcnt vmcnt(14)
	v_mul_f16_sdwa v21, v48, v13 dst_sel:DWORD dst_unused:UNUSED_PAD src0_sel:WORD_1 src1_sel:DWORD
	v_mul_f16_sdwa v7, v49, v11 dst_sel:DWORD dst_unused:UNUSED_PAD src0_sel:WORD_1 src1_sel:DWORD
	v_fma_f16 v11, v49, v11, -v24
	ds_write_b32 v50, v6 offset:1872
	v_pack_b32_f16 v6, v8, v10
	v_mul_f16_sdwa v8, v48, v20 dst_sel:DWORD dst_unused:UNUSED_PAD src0_sel:WORD_1 src1_sel:DWORD
	v_fmac_f16_e32 v7, v49, v9
	s_waitcnt vmcnt(11)
	v_lshrrev_b32_e32 v10, 16, v14
	v_fma_f16 v9, v48, v20, -v21
	s_waitcnt vmcnt(10)
	v_mul_f16_sdwa v20, v47, v14 dst_sel:DWORD dst_unused:UNUSED_PAD src0_sel:WORD_1 src1_sel:DWORD
	ds_write2_b32 v50, v4, v6 offset1:78
	v_pack_b32_f16 v4, v7, v11
	v_fmac_f16_e32 v8, v48, v13
	v_mul_f16_sdwa v6, v47, v10 dst_sel:DWORD dst_unused:UNUSED_PAD src0_sel:WORD_1 src1_sel:DWORD
	s_waitcnt vmcnt(8)
	v_lshrrev_b32_e32 v7, 16, v15
	v_mul_f16_sdwa v11, v46, v15 dst_sel:DWORD dst_unused:UNUSED_PAD src0_sel:WORD_1 src1_sel:DWORD
	v_fma_f16 v10, v47, v10, -v20
	v_pack_b32_f16 v8, v8, v9
	v_fmac_f16_e32 v6, v47, v14
	v_mul_f16_sdwa v9, v46, v7 dst_sel:DWORD dst_unused:UNUSED_PAD src0_sel:WORD_1 src1_sel:DWORD
	v_fma_f16 v7, v46, v7, -v11
	s_waitcnt vmcnt(7)
	v_lshrrev_b32_e32 v11, 16, v16
	v_mul_f16_sdwa v13, v45, v16 dst_sel:DWORD dst_unused:UNUSED_PAD src0_sel:WORD_1 src1_sel:DWORD
	v_pack_b32_f16 v6, v6, v10
	v_fmac_f16_e32 v9, v46, v15
	s_waitcnt vmcnt(6)
	v_lshrrev_b32_e32 v10, 16, v17
	v_mul_f16_sdwa v14, v45, v11 dst_sel:DWORD dst_unused:UNUSED_PAD src0_sel:WORD_1 src1_sel:DWORD
	v_fma_f16 v11, v45, v11, -v13
	v_mul_f16_sdwa v13, v44, v17 dst_sel:DWORD dst_unused:UNUSED_PAD src0_sel:WORD_1 src1_sel:DWORD
	v_pack_b32_f16 v7, v9, v7
	v_mul_f16_sdwa v9, v44, v10 dst_sel:DWORD dst_unused:UNUSED_PAD src0_sel:WORD_1 src1_sel:DWORD
	s_waitcnt vmcnt(5)
	v_lshrrev_b32_e32 v15, 16, v18
	v_fmac_f16_e32 v14, v45, v16
	v_fma_f16 v10, v44, v10, -v13
	s_waitcnt vmcnt(4)
	v_mul_f16_sdwa v13, v43, v18 dst_sel:DWORD dst_unused:UNUSED_PAD src0_sel:WORD_1 src1_sel:DWORD
	s_waitcnt vmcnt(3)
	v_lshrrev_b32_e32 v16, 16, v19
	s_waitcnt vmcnt(2)
	v_lshrrev_b32_e32 v20, 16, v5
	v_fmac_f16_e32 v9, v44, v17
	v_mul_f16_sdwa v17, v43, v15 dst_sel:DWORD dst_unused:UNUSED_PAD src0_sel:WORD_1 src1_sel:DWORD
	v_fma_f16 v13, v43, v15, -v13
	s_waitcnt vmcnt(1)
	v_mul_f16_sdwa v15, v42, v19 dst_sel:DWORD dst_unused:UNUSED_PAD src0_sel:WORD_1 src1_sel:DWORD
	v_mul_f16_sdwa v21, v42, v16 dst_sel:DWORD dst_unused:UNUSED_PAD src0_sel:WORD_1 src1_sel:DWORD
	s_waitcnt vmcnt(0)
	v_mul_f16_sdwa v24, v41, v5 dst_sel:DWORD dst_unused:UNUSED_PAD src0_sel:WORD_1 src1_sel:DWORD
	v_mul_f16_sdwa v28, v41, v20 dst_sel:DWORD dst_unused:UNUSED_PAD src0_sel:WORD_1 src1_sel:DWORD
	v_fmac_f16_e32 v17, v43, v18
	v_fma_f16 v15, v42, v16, -v15
	v_fmac_f16_e32 v21, v42, v19
	v_fma_f16 v16, v41, v20, -v24
	v_fmac_f16_e32 v28, v41, v5
	v_pack_b32_f16 v5, v14, v11
	v_pack_b32_f16 v9, v9, v10
	;; [unrolled: 1-line block ×5, first 2 shown]
	ds_write2_b32 v2, v4, v6 offset0:34 offset1:112
	ds_write2_b32 v50, v8, v7 offset0:156 offset1:234
	;; [unrolled: 1-line block ×4, first 2 shown]
	ds_write_b32 v50, v13 offset:3432
	s_waitcnt lgkmcnt(0)
	s_barrier
	buffer_gl0_inv
	ds_read2_b32 v[4:5], v50 offset1:78
	ds_read2_b32 v[6:7], v22 offset0:84 offset1:162
	ds_read2_b32 v[8:9], v50 offset0:156 offset1:234
	;; [unrolled: 1-line block ×5, first 2 shown]
	v_add_co_ci_u32_e64 v17, null, 0, 0, s0
	v_and_b32_e32 v24, 1, v51
	s_waitcnt lgkmcnt(0)
	s_barrier
	buffer_gl0_inv
	v_lshlrev_b32_e32 v28, 2, v24
	v_and_or_b32 v0, 0xfc, v39, v24
	v_lshl_add_u32 v58, v0, 2, v55
	v_pk_add_f16 v17, v4, v6 neg_lo:[0,1] neg_hi:[0,1]
	v_pk_add_f16 v6, v5, v7 neg_lo:[0,1] neg_hi:[0,1]
	v_pk_add_f16 v19, v8, v10 neg_lo:[0,1] neg_hi:[0,1]
	v_pk_add_f16 v10, v9, v11 neg_lo:[0,1] neg_hi:[0,1]
	v_pk_add_f16 v21, v13, v15 neg_lo:[0,1] neg_hi:[0,1]
	v_pk_add_f16 v15, v14, v16 neg_lo:[0,1] neg_hi:[0,1]
	v_pk_fma_f16 v16, v4, 2.0, v17 op_sel_hi:[1,0,1] neg_lo:[0,0,1] neg_hi:[0,0,1]
	v_pk_fma_f16 v5, v5, 2.0, v6 op_sel_hi:[1,0,1] neg_lo:[0,0,1] neg_hi:[0,0,1]
	;; [unrolled: 1-line block ×6, first 2 shown]
	ds_write_b64 v35, v[16:17]
	ds_write_b64 v34, v[5:6]
	;; [unrolled: 1-line block ×6, first 2 shown]
	s_waitcnt lgkmcnt(0)
	s_barrier
	buffer_gl0_inv
	global_load_dword v29, v28, s[14:15]
	v_lshlrev_b32_e32 v8, 1, v25
	v_lshlrev_b32_e32 v13, 1, v36
	v_lshlrev_b32_e32 v14, 1, v37
	ds_read2_b32 v[4:5], v22 offset0:84 offset1:162
	ds_read2_b32 v[6:7], v50 offset1:78
	v_and_or_b32 v17, 0x3fc, v8, v24
	ds_read2_b32 v[8:9], v2 offset0:112 offset1:190
	ds_read2_b32 v[10:11], v50 offset0:156 offset1:234
	v_and_or_b32 v18, 0x3fc, v13, v24
	v_and_or_b32 v19, 0x3fc, v14, v24
	ds_read2_b32 v[13:14], v23 offset0:12 offset1:90
	ds_read2_b32 v[64:65], v3 offset0:56 offset1:134
	v_lshlrev_b32_e32 v15, 1, v38
	v_lshlrev_b32_e32 v28, 1, v26
	v_lshl_add_u32 v61, v18, 2, v55
	v_lshl_add_u32 v60, v17, 2, v55
	;; [unrolled: 1-line block ×3, first 2 shown]
	v_and_or_b32 v15, 0x7fc, v15, v24
	v_and_or_b32 v16, 0x1fc, v28, v24
	s_waitcnt vmcnt(0) lgkmcnt(0)
	s_barrier
	buffer_gl0_inv
	v_lshl_add_u32 v63, v15, 2, v55
	v_lshl_add_u32 v59, v16, 2, v55
	v_lshrrev_b32_e32 v0, 16, v4
	v_lshrrev_b32_e32 v15, 16, v5
	;; [unrolled: 1-line block ×12, first 2 shown]
	v_mul_f16_sdwa v24, v0, v29 dst_sel:DWORD dst_unused:UNUSED_PAD src0_sel:DWORD src1_sel:WORD_1
	v_mul_f16_sdwa v40, v4, v29 dst_sel:DWORD dst_unused:UNUSED_PAD src0_sel:DWORD src1_sel:WORD_1
	;; [unrolled: 1-line block ×12, first 2 shown]
	v_fma_f16 v4, v4, v29, -v24
	v_fmac_f16_e32 v40, v0, v29
	v_fma_f16 v0, v5, v29, -v57
	v_fmac_f16_e32 v67, v15, v29
	;; [unrolled: 2-line block ×4, first 2 shown]
	v_fmac_f16_e32 v72, v20, v29
	v_fma_f16 v9, v13, v29, -v73
	v_fma_f16 v13, v14, v29, -v74
	v_fmac_f16_e32 v75, v22, v29
	v_sub_f16_e32 v14, v6, v4
	v_sub_f16_e32 v79, v17, v40
	;; [unrolled: 1-line block ×12, first 2 shown]
	v_fma_f16 v13, v6, 2.0, -v14
	v_fma_f16 v40, v17, 2.0, -v79
	;; [unrolled: 1-line block ×10, first 2 shown]
	v_pack_b32_f16 v0, v14, v79
	v_fma_f16 v23, v65, 2.0, -v24
	v_fma_f16 v85, v66, 2.0, -v77
	v_pack_b32_f16 v9, v13, v40
	v_pack_b32_f16 v4, v16, v78
	;; [unrolled: 1-line block ×11, first 2 shown]
	ds_write2_b32 v58, v9, v0 offset1:2
	ds_write2_b32 v59, v10, v4 offset1:2
	;; [unrolled: 1-line block ×6, first 2 shown]
	s_waitcnt lgkmcnt(0)
	s_barrier
	buffer_gl0_inv
	s_and_saveexec_b32 s0, vcc_lo
	s_cbranch_execz .LBB0_3
; %bb.2:
	ds_read2_b32 v[13:14], v50 offset1:72
	ds_read2_b32 v[15:16], v50 offset0:144 offset1:216
	ds_read2_b32 v[17:18], v3 offset0:32 offset1:104
	;; [unrolled: 1-line block ×5, first 2 shown]
	ds_read_b32 v88, v50 offset:3456
	s_waitcnt lgkmcnt(6)
	v_lshrrev_b32_e32 v40, 16, v13
	v_lshrrev_b32_e32 v79, 16, v14
	s_waitcnt lgkmcnt(5)
	v_lshrrev_b32_e32 v81, 16, v15
	v_lshrrev_b32_e32 v78, 16, v16
	;; [unrolled: 3-line block ×6, first 2 shown]
	s_waitcnt lgkmcnt(0)
	v_lshrrev_b32_e32 v89, 16, v88
.LBB0_3:
	s_or_b32 exec_lo, exec_lo, s0
	v_and_b32_e32 v56, 3, v51
	v_mul_u32_u24_e32 v0, 12, v56
	v_lshlrev_b32_e32 v8, 2, v0
	s_clause 0x2
	global_load_dwordx4 v[4:7], v8, s[14:15] offset:8
	global_load_dwordx4 v[0:3], v8, s[14:15] offset:24
	;; [unrolled: 1-line block ×3, first 2 shown]
	s_waitcnt vmcnt(0)
	s_barrier
	buffer_gl0_inv
	v_mul_f16_sdwa v82, v79, v4 dst_sel:DWORD dst_unused:UNUSED_PAD src0_sel:DWORD src1_sel:WORD_1
	v_mul_f16_sdwa v75, v14, v4 dst_sel:DWORD dst_unused:UNUSED_PAD src0_sel:DWORD src1_sel:WORD_1
	;; [unrolled: 1-line block ×9, first 2 shown]
	v_fma_f16 v83, v14, v4, -v82
	v_fmac_f16_e32 v75, v79, v4
	v_fma_f16 v14, v88, v11, -v100
	v_fmac_f16_e32 v65, v89, v11
	v_mul_f16_sdwa v73, v16, v6 dst_sel:DWORD dst_unused:UNUSED_PAD src0_sel:DWORD src1_sel:WORD_1
	v_mul_f16_sdwa v92, v84, v7 dst_sel:DWORD dst_unused:UNUSED_PAD src0_sel:DWORD src1_sel:WORD_1
	;; [unrolled: 1-line block ×6, first 2 shown]
	v_fma_f16 v82, v15, v5, -v90
	v_fmac_f16_e32 v74, v81, v5
	v_fma_f16 v81, v16, v6, -v91
	v_fma_f16 v16, v24, v10, -v99
	v_fmac_f16_e32 v64, v77, v10
	v_sub_f16_e32 v103, v83, v14
	v_sub_f16_e32 v122, v75, v65
	v_mul_f16_sdwa v72, v17, v7 dst_sel:DWORD dst_unused:UNUSED_PAD src0_sel:DWORD src1_sel:WORD_1
	v_mul_f16_sdwa v71, v18, v0 dst_sel:DWORD dst_unused:UNUSED_PAD src0_sel:DWORD src1_sel:WORD_1
	;; [unrolled: 1-line block ×7, first 2 shown]
	v_fmac_f16_e32 v73, v78, v6
	v_fma_f16 v79, v17, v7, -v92
	v_fma_f16 v78, v18, v0, -v93
	;; [unrolled: 1-line block ×4, first 2 shown]
	v_fmac_f16_e32 v67, v85, v9
	v_add_f16_e32 v97, v83, v14
	v_add_f16_e32 v116, v75, v65
	v_sub_f16_e32 v101, v82, v16
	v_sub_f16_e32 v121, v74, v64
	v_mul_f16_e32 v90, 0xb770, v122
	v_mul_f16_e32 v93, 0xb770, v103
	v_mul_f16_sdwa v70, v19, v1 dst_sel:DWORD dst_unused:UNUSED_PAD src0_sel:DWORD src1_sel:WORD_1
	v_mul_f16_sdwa v68, v21, v3 dst_sel:DWORD dst_unused:UNUSED_PAD src0_sel:DWORD src1_sel:WORD_1
	v_fmac_f16_e32 v72, v84, v7
	v_fmac_f16_e32 v71, v76, v0
	v_fma_f16 v76, v19, v1, -v94
	v_fma_f16 v19, v20, v2, -v95
	;; [unrolled: 1-line block ×3, first 2 shown]
	v_fmac_f16_e32 v66, v80, v8
	v_fmac_f16_e32 v69, v57, v2
	v_add_f16_e32 v96, v82, v16
	v_add_f16_e32 v114, v74, v64
	v_sub_f16_e32 v100, v81, v15
	v_sub_f16_e32 v120, v73, v67
	v_mul_f16_e32 v89, 0xba95, v121
	v_mul_f16_e32 v91, 0xba95, v101
	v_fmamk_f16 v20, v97, 0x3b15, v90
	v_fma_f16 v57, v116, 0x3b15, -v93
	v_fmac_f16_e32 v68, v87, v3
	v_add_f16_e32 v95, v81, v15
	v_add_f16_e32 v111, v73, v67
	v_sub_f16_e32 v99, v79, v17
	v_sub_f16_e32 v119, v72, v66
	v_mul_f16_e32 v24, 0xbbf1, v120
	v_mul_f16_e32 v87, 0xbbf1, v100
	v_fmamk_f16 v77, v96, 0x388b, v89
	v_fma_f16 v80, v114, 0x388b, -v91
	v_add_f16_e32 v20, v13, v20
	v_add_f16_e32 v57, v40, v57
	v_fmac_f16_e32 v70, v86, v1
	v_add_f16_e32 v92, v79, v17
	v_add_f16_e32 v112, v72, v66
	v_sub_f16_e32 v98, v78, v18
	v_sub_f16_e32 v117, v71, v68
	v_mul_f16_e32 v22, 0xbb7b, v119
	v_mul_f16_e32 v84, 0xbb7b, v99
	v_fmamk_f16 v88, v95, 0x2fb7, v24
	v_fma_f16 v102, v111, 0x2fb7, -v87
	v_add_f16_e32 v77, v77, v20
	v_add_f16_e32 v57, v80, v57
	v_add_f16_e32 v23, v78, v18
	v_add_f16_e32 v113, v71, v68
	v_sub_f16_e32 v118, v70, v69
	v_sub_f16_e32 v94, v76, v19
	v_mul_f16_e32 v21, 0xb94e, v117
	v_mul_f16_e32 v85, 0xb94e, v98
	v_fmamk_f16 v80, v92, 0xb5ac, v22
	v_fma_f16 v104, v112, 0xb5ac, -v84
	v_add_f16_e32 v77, v88, v77
	v_add_f16_e32 v57, v102, v57
	;; [unrolled: 1-line block ×4, first 2 shown]
	v_mul_f16_e32 v20, 0xb3a8, v118
	v_mul_f16_e32 v88, 0xb3a8, v94
	v_fmamk_f16 v102, v23, 0xb9fd, v21
	v_fma_f16 v105, v113, 0xb9fd, -v85
	v_add_f16_e32 v77, v80, v77
	v_add_f16_e32 v57, v104, v57
	v_fmamk_f16 v80, v86, 0xbbc4, v20
	v_fma_f16 v104, v115, 0xbbc4, -v88
	v_add_f16_e32 v77, v102, v77
	v_add_f16_e32 v57, v105, v57
	;; [unrolled: 1-line block ×4, first 2 shown]
	v_lshrrev_b32_e32 v57, 2, v51
	s_and_saveexec_b32 s0, vcc_lo
	s_cbranch_execz .LBB0_5
; %bb.4:
	v_mul_f16_e32 v123, 0x388b, v116
	v_mul_f16_e32 v124, 0xb5ac, v114
	;; [unrolled: 1-line block ×5, first 2 shown]
	v_fmamk_f16 v102, v103, 0x3a95, v123
	v_fmamk_f16 v105, v101, 0x3b7b, v124
	;; [unrolled: 1-line block ×3, first 2 shown]
	v_mul_f16_e32 v110, 0xb9fd, v112
	v_mul_f16_e32 v128, 0xb3a8, v120
	v_add_f16_e32 v102, v40, v102
	v_fmamk_f16 v108, v100, 0x33a8, v125
	v_fmamk_f16 v130, v96, 0xb5ac, v127
	v_add_f16_e32 v109, v13, v109
	v_mul_f16_e32 v106, 0x2fb7, v113
	v_add_f16_e32 v102, v105, v102
	v_mul_f16_e32 v107, 0x394e, v119
	v_mul_f16_e32 v129, 0x2fb7, v116
	v_fmamk_f16 v105, v99, 0xb94e, v110
	v_fmamk_f16 v132, v95, 0xbbc4, v128
	v_add_f16_e32 v102, v108, v102
	v_add_f16_e32 v109, v130, v109
	v_mul_f16_e32 v104, 0x3b15, v115
	v_mul_f16_e32 v131, 0xbbc4, v114
	v_fmamk_f16 v108, v98, 0xbbf1, v106
	v_add_f16_e32 v102, v105, v102
	v_fmamk_f16 v130, v103, 0x3bf1, v129
	v_fmamk_f16 v133, v92, 0xb9fd, v107
	v_add_f16_e32 v132, v132, v109
	v_mul_f16_e32 v109, 0x3bf1, v117
	v_fmamk_f16 v105, v94, 0xb770, v104
	v_add_f16_e32 v102, v108, v102
	v_add_f16_e32 v108, v40, v130
	v_fmamk_f16 v130, v101, 0x33a8, v131
	v_mul_f16_e32 v134, 0xb5ac, v111
	v_add_f16_e32 v132, v133, v132
	v_fmamk_f16 v133, v23, 0x2fb7, v109
	v_add_f16_e32 v102, v105, v102
	v_add_f16_e32 v105, v130, v108
	v_fmamk_f16 v108, v100, 0xbb7b, v134
	v_mul_f16_e32 v130, 0x3b15, v112
	v_add_f16_e32 v132, v133, v132
	v_mul_f16_e32 v133, 0x3770, v118
	v_mul_f16_e32 v135, 0xbbf1, v122
	v_add_f16_e32 v105, v108, v105
	v_fmamk_f16 v108, v99, 0xb770, v130
	v_mul_f16_e32 v139, 0xb3a8, v121
	v_fmamk_f16 v137, v86, 0x3b15, v133
	v_fmamk_f16 v138, v97, 0x2fb7, v135
	v_mul_f16_e32 v136, 0x388b, v113
	v_add_f16_e32 v108, v108, v105
	v_mul_f16_e32 v141, 0xb5ac, v116
	v_add_f16_e32 v105, v137, v132
	v_add_f16_e32 v132, v13, v138
	v_fmamk_f16 v137, v96, 0xbbc4, v139
	v_mul_f16_e32 v138, 0x3b7b, v120
	v_fmamk_f16 v140, v98, 0x3a95, v136
	v_mul_f16_e32 v142, 0x3770, v119
	v_fmamk_f16 v144, v103, 0x3b7b, v141
	v_add_f16_e32 v132, v137, v132
	v_fmamk_f16 v137, v95, 0xb5ac, v138
	v_add_f16_e32 v108, v140, v108
	v_mul_f16_e32 v140, 0xb9fd, v115
	v_mul_f16_e32 v145, 0xb9fd, v114
	;; [unrolled: 1-line block ×3, first 2 shown]
	v_add_f16_e32 v132, v137, v132
	v_fmamk_f16 v137, v92, 0x3b15, v142
	v_fmamk_f16 v143, v94, 0x394e, v140
	v_add_f16_e32 v144, v40, v144
	v_fmamk_f16 v147, v101, 0xb94e, v145
	v_mul_f16_e32 v148, 0x3b15, v111
	v_add_f16_e32 v132, v137, v132
	v_fmamk_f16 v137, v23, 0x388b, v146
	v_add_f16_e32 v108, v143, v108
	v_add_f16_e32 v143, v147, v144
	v_fmamk_f16 v144, v100, 0xb770, v148
	v_mul_f16_e32 v147, 0x2fb7, v112
	v_add_f16_e32 v132, v137, v132
	v_mul_f16_e32 v137, 0xb94e, v118
	v_mul_f16_e32 v149, 0xbb7b, v122
	v_add_f16_e32 v143, v144, v143
	v_fmamk_f16 v144, v99, 0x3bf1, v147
	v_mul_f16_e32 v150, 0xbbc4, v113
	v_fmamk_f16 v151, v86, 0xb9fd, v137
	v_fmamk_f16 v152, v97, 0xb5ac, v149
	v_mul_f16_e32 v153, 0x394e, v121
	v_add_f16_e32 v143, v144, v143
	v_fmamk_f16 v144, v98, 0xb3a8, v150
	v_add_f16_e32 v132, v151, v132
	v_add_f16_e32 v151, v13, v152
	v_fmamk_f16 v152, v96, 0xb9fd, v153
	v_mul_f16_e32 v154, 0x3770, v120
	v_mul_f16_e32 v155, 0xb9fd, v116
	v_add_f16_e32 v143, v144, v143
	v_mul_f16_e32 v144, 0x388b, v115
	v_add_f16_e32 v151, v152, v151
	v_fmamk_f16 v152, v95, 0x3b15, v154
	v_mul_f16_e32 v156, 0xbbf1, v119
	v_fmamk_f16 v158, v103, 0x394e, v155
	v_mul_f16_e32 v159, 0x2fb7, v114
	v_fmamk_f16 v157, v94, 0xba95, v144
	v_add_f16_e32 v151, v152, v151
	v_fmamk_f16 v152, v92, 0x2fb7, v156
	v_mul_f16_e32 v160, 0x33a8, v117
	v_add_f16_e32 v158, v40, v158
	v_fmamk_f16 v161, v101, 0xbbf1, v159
	v_mul_f16_e32 v162, 0x388b, v111
	v_add_f16_e32 v151, v152, v151
	v_fmamk_f16 v152, v23, 0xbbc4, v160
	v_add_f16_e32 v143, v157, v143
	v_add_f16_e32 v157, v161, v158
	v_fmamk_f16 v158, v100, 0x3a95, v162
	v_mul_f16_e32 v161, 0xbbc4, v112
	v_mul_f16_e32 v163, 0xb94e, v122
	v_add_f16_e32 v151, v152, v151
	v_mul_f16_e32 v152, 0x3a95, v118
	v_add_f16_e32 v157, v158, v157
	v_fmamk_f16 v158, v99, 0xb3a8, v161
	v_mul_f16_e32 v164, 0x3b15, v113
	v_fmamk_f16 v166, v97, 0xb9fd, v163
	v_mul_f16_e32 v167, 0x3bf1, v121
	v_fmamk_f16 v165, v86, 0x388b, v152
	v_add_f16_e32 v157, v158, v157
	v_fmamk_f16 v158, v98, 0xb770, v164
	v_mul_f16_e32 v168, 0xb5ac, v115
	v_add_f16_e32 v166, v13, v166
	v_fmamk_f16 v169, v96, 0x2fb7, v167
	v_mul_f16_e32 v170, 0xba95, v120
	v_add_f16_e32 v151, v165, v151
	v_add_f16_e32 v157, v158, v157
	v_fmamk_f16 v158, v94, 0x3b7b, v168
	v_mul_f16_e32 v165, 0xbbc4, v116
	v_add_f16_e32 v166, v169, v166
	v_fmamk_f16 v169, v95, 0x388b, v170
	v_mul_f16_e32 v171, 0x33a8, v119
	;; [unrolled: 3-line block ×10, first 2 shown]
	v_fmac_f16_e32 v165, 0xb3a8, v103
	v_fma_f16 v122, v97, 0xbbc4, -v122
	v_add_f16_e32 v158, v174, v158
	v_fmamk_f16 v174, v98, 0x3b7b, v178
	v_mul_f16_e32 v179, 0x2fb7, v115
	v_add_f16_e32 v169, v13, v169
	v_fmamk_f16 v180, v96, 0x3b15, v121
	v_mul_f16_e32 v120, 0xb94e, v120
	v_add_f16_e32 v165, v40, v165
	v_fmac_f16_e32 v172, 0x3770, v101
	v_add_f16_e32 v122, v13, v122
	v_fma_f16 v121, v96, 0x3b15, -v121
	v_add_f16_e32 v158, v174, v158
	v_fmamk_f16 v174, v94, 0xbbf1, v179
	v_add_f16_e32 v169, v180, v169
	v_fmamk_f16 v180, v95, 0xb9fd, v120
	v_mul_f16_e32 v119, 0x3a95, v119
	v_add_f16_e32 v165, v172, v165
	v_fmac_f16_e32 v175, 0xb94e, v100
	v_add_f16_e32 v121, v121, v122
	v_fma_f16 v120, v95, 0xb9fd, -v120
	v_add_f16_e32 v83, v13, v83
	v_add_f16_e32 v75, v40, v75
	;; [unrolled: 1-line block ×4, first 2 shown]
	v_fmamk_f16 v174, v92, 0x388b, v119
	v_mul_f16_e32 v117, 0xbb7b, v117
	v_add_f16_e32 v165, v175, v165
	v_fmac_f16_e32 v177, 0x3a95, v99
	v_add_f16_e32 v120, v120, v121
	v_fma_f16 v119, v92, 0x388b, -v119
	v_fmac_f16_e32 v129, 0xbbf1, v103
	v_add_f16_e32 v82, v83, v82
	v_add_f16_e32 v74, v75, v74
	;; [unrolled: 1-line block ×3, first 2 shown]
	v_fmamk_f16 v172, v23, 0xb5ac, v117
	v_mul_f16_e32 v118, 0x3bf1, v118
	v_add_f16_e32 v122, v177, v165
	v_fmac_f16_e32 v178, 0xbb7b, v98
	v_add_f16_e32 v119, v119, v120
	v_fma_f16 v117, v23, 0xb5ac, -v117
	v_mul_f16_e32 v116, 0x3b15, v116
	v_fmac_f16_e32 v141, 0xbb7b, v103
	v_add_f16_e32 v129, v40, v129
	v_fmac_f16_e32 v131, 0xb3a8, v101
	v_add_f16_e32 v81, v82, v81
	v_add_f16_e32 v73, v74, v73
	;; [unrolled: 1-line block ×3, first 2 shown]
	v_fmamk_f16 v121, v86, 0x2fb7, v118
	v_add_f16_e32 v122, v178, v122
	v_fmac_f16_e32 v179, 0x3bf1, v94
	v_fmac_f16_e32 v155, 0xb94e, v103
	v_add_f16_e32 v117, v117, v119
	v_mul_f16_e32 v119, 0x3b15, v97
	v_add_f16_e32 v141, v40, v141
	v_fmac_f16_e32 v145, 0x394e, v101
	v_add_f16_e32 v129, v131, v129
	v_fmac_f16_e32 v134, 0x3b7b, v100
	v_fmac_f16_e32 v123, 0xba95, v103
	v_add_f16_e32 v74, v93, v116
	v_add_f16_e32 v79, v81, v79
	;; [unrolled: 1-line block ×6, first 2 shown]
	v_fmac_f16_e32 v159, 0x3bf1, v101
	v_fma_f16 v155, v97, 0xb9fd, -v163
	v_mul_f16_e32 v114, 0x388b, v114
	v_add_f16_e32 v141, v145, v141
	v_fmac_f16_e32 v148, 0x3770, v100
	v_fma_f16 v149, v97, 0xb5ac, -v149
	v_add_f16_e32 v129, v134, v129
	v_fmac_f16_e32 v130, 0x3770, v99
	v_fma_f16 v134, v97, 0x2fb7, -v135
	v_add_f16_e32 v123, v40, v123
	v_fma_f16 v97, v97, 0x388b, -v126
	v_sub_f16_e32 v73, v119, v90
	v_add_f16_e32 v40, v40, v74
	v_add_f16_e32 v74, v79, v78
	;; [unrolled: 1-line block ×4, first 2 shown]
	v_fmac_f16_e32 v162, 0xba95, v100
	v_mul_f16_e32 v159, 0x388b, v96
	v_add_f16_e32 v155, v13, v155
	v_mul_f16_e32 v111, 0x2fb7, v111
	v_add_f16_e32 v141, v148, v141
	v_add_f16_e32 v148, v13, v149
	;; [unrolled: 1-line block ×4, first 2 shown]
	v_fma_f16 v134, v96, 0xbbc4, -v139
	v_add_f16_e32 v97, v13, v97
	v_add_f16_e32 v78, v91, v114
	;; [unrolled: 1-line block ×5, first 2 shown]
	v_fma_f16 v163, v96, 0x2fb7, -v167
	v_add_f16_e32 v122, v162, v122
	v_mul_f16_e32 v162, 0x2fb7, v95
	v_mul_f16_e32 v112, 0xb5ac, v112
	v_fmac_f16_e32 v147, 0xbbf1, v99
	v_fma_f16 v149, v96, 0xb9fd, -v153
	v_add_f16_e32 v130, v134, v130
	v_fma_f16 v134, v95, 0xb5ac, -v138
	v_fmac_f16_e32 v124, 0xbb7b, v101
	v_fma_f16 v96, v96, 0xb5ac, -v127
	v_sub_f16_e32 v72, v159, v89
	v_add_f16_e32 v40, v78, v40
	v_add_f16_e32 v71, v87, v111
	;; [unrolled: 1-line block ×4, first 2 shown]
	v_fmac_f16_e32 v161, 0x33a8, v99
	v_add_f16_e32 v155, v163, v155
	v_mul_f16_e32 v163, 0xb5ac, v92
	v_fma_f16 v165, v95, 0x388b, -v170
	v_mul_f16_e32 v113, 0xb9fd, v113
	v_add_f16_e32 v141, v147, v141
	v_fmac_f16_e32 v150, 0x33a8, v98
	v_add_f16_e32 v147, v149, v148
	v_fma_f16 v148, v95, 0x3b15, -v154
	v_add_f16_e32 v101, v134, v130
	v_fma_f16 v126, v92, 0x3b15, -v142
	v_add_f16_e32 v123, v124, v123
	v_fmac_f16_e32 v125, 0xb3a8, v100
	v_add_f16_e32 v96, v96, v97
	v_fma_f16 v95, v95, 0xbbc4, -v128
	v_add_f16_e32 v13, v72, v13
	v_sub_f16_e32 v24, v162, v24
	v_add_f16_e32 v40, v71, v40
	v_add_f16_e32 v70, v84, v112
	;; [unrolled: 1-line block ×5, first 2 shown]
	v_mul_f16_e32 v161, 0xb9fd, v23
	v_fmac_f16_e32 v164, 0x3770, v98
	v_fma_f16 v167, v92, 0xbbc4, -v171
	v_add_f16_e32 v131, v150, v141
	v_add_f16_e32 v141, v148, v147
	v_fma_f16 v147, v92, 0x2fb7, -v156
	v_add_f16_e32 v100, v126, v101
	v_fma_f16 v101, v23, 0x388b, -v146
	v_add_f16_e32 v123, v125, v123
	v_fmac_f16_e32 v110, 0x394e, v99
	v_add_f16_e32 v95, v95, v96
	v_fma_f16 v92, v92, 0xb9fd, -v107
	v_add_f16_e32 v13, v24, v13
	v_sub_f16_e32 v22, v163, v22
	v_add_f16_e32 v24, v70, v40
	v_add_f16_e32 v17, v18, v17
	;; [unrolled: 1-line block ×5, first 2 shown]
	v_mul_f16_e32 v165, 0xbbc4, v86
	v_mul_f16_e32 v115, 0xbbc4, v115
	v_add_f16_e32 v122, v164, v122
	v_fma_f16 v164, v23, 0x3b15, -v173
	v_add_f16_e32 v135, v147, v141
	v_fma_f16 v141, v23, 0xbbc4, -v160
	v_fmac_f16_e32 v136, 0xba95, v98
	v_add_f16_e32 v99, v101, v100
	v_add_f16_e32 v100, v110, v123
	v_fmac_f16_e32 v106, 0x3bf1, v98
	v_add_f16_e32 v83, v92, v95
	v_fma_f16 v23, v23, 0x2fb7, -v109
	v_add_f16_e32 v13, v22, v13
	v_sub_f16_e32 v21, v161, v21
	v_add_f16_e32 v15, v17, v15
	v_add_f16_e32 v17, v18, v24
	;; [unrolled: 1-line block ×5, first 2 shown]
	v_fmac_f16_e32 v140, 0xb94e, v94
	v_add_f16_e32 v96, v106, v100
	v_fmac_f16_e32 v104, 0x3770, v94
	v_fma_f16 v75, v86, 0xb9fd, -v137
	v_add_f16_e32 v23, v23, v83
	v_fma_f16 v81, v86, 0x3b15, -v133
	v_add_f16_e32 v19, v88, v115
	v_add_f16_e32 v13, v21, v13
	;; [unrolled: 1-line block ×3, first 2 shown]
	v_mul_u32_u24_e32 v16, 52, v57
	v_add_f16_e32 v18, v18, v64
	v_sub_f16_e32 v20, v165, v20
	v_fmac_f16_e32 v168, 0xbb7b, v94
	v_add_f16_e32 v145, v164, v155
	v_fma_f16 v155, v86, 0xb5ac, -v176
	v_fmac_f16_e32 v144, 0x3a95, v94
	v_add_f16_e32 v135, v141, v135
	v_fma_f16 v103, v86, 0x388b, -v152
	v_add_f16_e32 v97, v140, v129
	v_add_f16_e32 v82, v104, v96
	;; [unrolled: 1-line block ×4, first 2 shown]
	v_or_b32_e32 v15, v16, v56
	v_add_f16_e32 v16, v18, v65
	v_add_f16_e32 v13, v20, v13
	;; [unrolled: 1-line block ×4, first 2 shown]
	v_fma_f16 v118, v86, 0x2fb7, -v118
	v_add_f16_e32 v122, v168, v122
	v_add_f16_e32 v131, v144, v131
	v_lshl_add_u32 v15, v15, 2, v55
	v_pack_b32_f16 v14, v14, v16
	v_pack_b32_f16 v13, v13, v17
	;; [unrolled: 1-line block ×4, first 2 shown]
	v_add_f16_e32 v18, v103, v135
	v_add_f16_e32 v19, v155, v145
	;; [unrolled: 1-line block ×3, first 2 shown]
	ds_write2_b32 v15, v14, v13 offset1:4
	ds_write2_b32 v15, v16, v17 offset0:8 offset1:12
	v_pack_b32_f16 v17, v120, v158
	v_pack_b32_f16 v13, v18, v131
	;; [unrolled: 1-line block ×8, first 2 shown]
	v_perm_b32 v22, v80, v77, 0x5040100
	ds_write2_b32 v15, v13, v14 offset0:16 offset1:20
	ds_write2_b32 v15, v16, v17 offset0:24 offset1:28
	;; [unrolled: 1-line block ×4, first 2 shown]
	ds_write_b32 v15, v22 offset:192
.LBB0_5:
	s_or_b32 exec_lo, exec_lo, s0
	v_and_b32_e32 v15, 0xff, v26
	v_add_co_u32 v13, s0, 0xffffffcc, v51
	v_and_b32_e32 v17, 0xff, v25
	v_add_co_ci_u32_e64 v14, null, 0, -1, s0
	v_mul_lo_u16 v16, 0x4f, v15
	v_cmp_gt_u16_e64 s0, 52, v51
	v_mul_lo_u16 v70, 0x4f, v17
	s_waitcnt lgkmcnt(0)
	s_barrier
	v_lshrrev_b16 v20, 12, v16
	v_mov_b32_e32 v16, 0x4ec5
	v_cndmask_b32_e64 v14, v14, 0, s0
	v_cndmask_b32_e64 v13, v13, v51, s0
	v_lshrrev_b16 v74, 12, v70
	v_mul_lo_u16 v17, v20, 52
	v_mul_u32_u24_sdwa v71, v36, v16 dst_sel:DWORD dst_unused:UNUSED_PAD src0_sel:WORD_0 src1_sel:DWORD
	v_mul_u32_u24_sdwa v18, v37, v16 dst_sel:DWORD dst_unused:UNUSED_PAD src0_sel:WORD_0 src1_sel:DWORD
	v_mul_u32_u24_sdwa v16, v38, v16 dst_sel:DWORD dst_unused:UNUSED_PAD src0_sel:WORD_0 src1_sel:DWORD
	v_lshlrev_b64 v[14:15], 2, v[13:14]
	v_sub_nc_u16 v75, v26, v17
	v_lshrrev_b32_e32 v76, 20, v71
	v_mul_lo_u16 v17, v74, 52
	v_lshrrev_b32_e32 v81, 20, v18
	v_lshrrev_b32_e32 v84, 20, v16
	v_add_co_u32 v14, s0, s14, v14
	v_mul_lo_u16 v18, v76, 52
	v_add_co_ci_u32_e64 v15, s0, s15, v15, s0
	v_mov_b32_e32 v16, 2
	v_sub_nc_u16 v85, v25, v17
	v_mul_lo_u16 v17, v81, 52
	v_mul_lo_u16 v19, v84, 52
	v_sub_nc_u16 v86, v36, v18
	buffer_gl0_inv
	global_load_dword v66, v[14:15], off offset:200
	v_lshlrev_b32_sdwa v14, v16, v75 dst_sel:DWORD dst_unused:UNUSED_PAD src0_sel:DWORD src1_sel:BYTE_0
	v_sub_nc_u16 v87, v37, v17
	v_lshlrev_b32_sdwa v15, v16, v85 dst_sel:DWORD dst_unused:UNUSED_PAD src0_sel:DWORD src1_sel:BYTE_0
	v_sub_nc_u16 v88, v38, v19
	v_lshlrev_b32_sdwa v17, v16, v86 dst_sel:DWORD dst_unused:UNUSED_PAD src0_sel:DWORD src1_sel:WORD_0
	global_load_dword v69, v14, s[14:15] offset:200
	v_cmp_lt_u16_e64 s0, 51, v51
	global_load_dword v68, v15, s[14:15] offset:200
	v_lshlrev_b32_sdwa v14, v16, v87 dst_sel:DWORD dst_unused:UNUSED_PAD src0_sel:DWORD src1_sel:WORD_0
	v_lshlrev_b32_sdwa v15, v16, v88 dst_sel:DWORD dst_unused:UNUSED_PAD src0_sel:DWORD src1_sel:WORD_0
	s_clause 0x2
	global_load_dword v67, v17, s[14:15] offset:200
	global_load_dword v65, v14, s[14:15] offset:200
	;; [unrolled: 1-line block ×3, first 2 shown]
	v_add_nc_u32_e32 v38, 0x600, v50
	v_cndmask_b32_e64 v40, 0, 0x68, s0
	v_add_co_u32 v21, s0, 0xffffffe6, v51
	v_add_co_ci_u32_e64 v22, null, 0, -1, s0
	v_cmp_gt_u16_e64 s0, 26, v51
	ds_read2_b32 v[18:19], v38 offset0:84 offset1:162
	v_add_nc_u32_e32 v82, 0x800, v50
	v_add_nc_u32_e32 v83, 0x400, v50
	;; [unrolled: 1-line block ×3, first 2 shown]
	v_cndmask_b32_e64 v22, v22, v27, s0
	v_cndmask_b32_e64 v21, v21, v26, s0
	ds_read2_b32 v[14:15], v50 offset1:78
	ds_read2_b32 v[16:17], v50 offset0:156 offset1:234
	ds_read2_b32 v[23:24], v82 offset0:112 offset1:190
	ds_read2_b32 v[26:27], v83 offset0:56 offset1:134
	v_lshlrev_b32_e32 v90, 2, v39
	v_add_nc_u32_e32 v13, v13, v40
	ds_read2_b32 v[39:40], v37 offset0:12 offset1:90
	v_mov_b32_e32 v78, 0x68
	v_lshlrev_b64 v[72:73], 3, v[21:22]
	v_lshrrev_b16 v70, 13, v70
	v_lshrrev_b32_e32 v22, 21, v71
	v_lshl_add_u32 v71, v13, 2, v55
	v_mul_u32_u24_sdwa v13, v20, v78 dst_sel:DWORD dst_unused:UNUSED_PAD src0_sel:WORD_0 src1_sel:DWORD
	v_mul_u32_u24_sdwa v20, v74, v78 dst_sel:DWORD dst_unused:UNUSED_PAD src0_sel:WORD_0 src1_sel:DWORD
	v_mul_lo_u16 v74, 0x68, v70
	v_mul_lo_u16 v22, 0x68, v22
	v_add_co_u32 v78, s0, s14, v72
	v_add_nc_u32_sdwa v13, v13, v75 dst_sel:DWORD dst_unused:UNUSED_PAD src0_sel:DWORD src1_sel:BYTE_0
	v_sub_nc_u16 v95, v25, v74
	v_sub_nc_u16 v96, v36, v22
	s_waitcnt lgkmcnt(5)
	v_lshrrev_b32_e32 v22, 16, v18
	v_add_nc_u32_sdwa v20, v20, v85 dst_sel:DWORD dst_unused:UNUSED_PAD src0_sel:DWORD src1_sel:BYTE_0
	v_mad_u16 v74, 0x68, v76, v86
	v_mad_u16 v75, 0x68, v81, v87
	v_add_co_ci_u32_e64 v79, s0, s15, v73, s0
	v_lshrrev_b32_e32 v97, 16, v19
	v_mad_u16 v76, 0x68, v84, v88
	v_lshl_add_u32 v72, v13, 2, v55
	v_lshl_add_u32 v73, v20, 2, v55
	v_and_b32_e32 v13, 0xffff, v74
	v_and_b32_e32 v20, 0xffff, v75
	s_waitcnt lgkmcnt(2)
	v_lshrrev_b32_e32 v98, 16, v23
	v_lshrrev_b32_e32 v99, 16, v24
	s_waitcnt lgkmcnt(0)
	v_lshrrev_b32_e32 v101, 16, v39
	v_lshrrev_b32_e32 v103, 16, v40
	;; [unrolled: 1-line block ×3, first 2 shown]
	v_lshl_add_u32 v74, v13, 2, v55
	v_lshl_add_u32 v75, v20, 2, v55
	v_lshrrev_b32_e32 v92, 16, v15
	v_lshrrev_b32_e32 v93, 16, v16
	v_lshrrev_b32_e32 v94, 16, v17
	v_lshrrev_b32_e32 v100, 16, v26
	v_lshrrev_b32_e32 v102, 16, v27
	v_lshlrev_b16 v81, 3, v96
	v_and_b32_e32 v76, 0xffff, v76
	s_waitcnt vmcnt(0)
	s_barrier
	buffer_gl0_inv
	v_and_b32_e32 v81, 0xffff, v81
	v_mov_b32_e32 v89, 3
	v_lshl_add_u32 v76, v76, 2, v55
	v_mul_f16_sdwa v84, v22, v66 dst_sel:DWORD dst_unused:UNUSED_PAD src0_sel:DWORD src1_sel:WORD_1
	v_mul_f16_sdwa v85, v18, v66 dst_sel:DWORD dst_unused:UNUSED_PAD src0_sel:DWORD src1_sel:WORD_1
	v_fma_f16 v13, v18, v66, -v84
	v_fmac_f16_e32 v85, v22, v66
	v_mul_f16_sdwa v18, v97, v69 dst_sel:DWORD dst_unused:UNUSED_PAD src0_sel:DWORD src1_sel:WORD_1
	v_mul_f16_sdwa v20, v19, v69 dst_sel:DWORD dst_unused:UNUSED_PAD src0_sel:DWORD src1_sel:WORD_1
	;; [unrolled: 1-line block ×10, first 2 shown]
	v_sub_f16_e32 v13, v14, v13
	v_sub_f16_e32 v85, v91, v85
	v_fma_f16 v18, v19, v69, -v18
	v_fmac_f16_e32 v20, v97, v69
	v_fma_f16 v19, v23, v68, -v22
	v_fmac_f16_e32 v84, v98, v68
	;; [unrolled: 2-line block ×5, first 2 shown]
	v_fma_f16 v14, v14, 2.0, -v13
	v_fma_f16 v39, v91, 2.0, -v85
	v_sub_f16_e32 v18, v15, v18
	v_sub_f16_e32 v20, v92, v20
	;; [unrolled: 1-line block ×6, first 2 shown]
	v_pack_b32_f16 v13, v13, v85
	v_sub_f16_e32 v23, v26, v23
	v_sub_f16_e32 v85, v100, v104
	;; [unrolled: 1-line block ×4, first 2 shown]
	v_pack_b32_f16 v14, v14, v39
	v_fma_f16 v15, v15, 2.0, -v18
	v_fma_f16 v39, v92, 2.0, -v20
	;; [unrolled: 1-line block ×10, first 2 shown]
	v_pack_b32_f16 v18, v18, v20
	ds_write2_b32 v71, v14, v13 offset1:52
	v_pack_b32_f16 v13, v15, v39
	v_pack_b32_f16 v19, v19, v40
	;; [unrolled: 1-line block ×9, first 2 shown]
	ds_write2_b32 v72, v13, v18 offset1:52
	ds_write2_b32 v73, v14, v19 offset1:52
	;; [unrolled: 1-line block ×5, first 2 shown]
	v_add_co_u32 v13, s0, s14, v81
	s_waitcnt lgkmcnt(0)
	s_barrier
	buffer_gl0_inv
	s_clause 0x1
	global_load_dwordx2 v[19:20], v90, s[14:15] offset:408
	global_load_dwordx2 v[17:18], v[78:79], off offset:408
	v_lshlrev_b32_sdwa v15, v89, v95 dst_sel:DWORD dst_unused:UNUSED_PAD src0_sel:DWORD src1_sel:BYTE_0
	v_add_co_ci_u32_e64 v14, null, s15, 0, s0
	s_clause 0x1
	global_load_dwordx2 v[15:16], v15, s[14:15] offset:408
	global_load_dwordx2 v[13:14], v[13:14], off offset:408
	ds_read2_b32 v[22:23], v50 offset1:78
	ds_read2_b32 v[26:27], v83 offset0:56 offset1:134
	ds_read2_b32 v[39:40], v82 offset0:112 offset1:190
	;; [unrolled: 1-line block ×5, first 2 shown]
	v_mov_b32_e32 v24, 0x138
	v_lshlrev_b32_e32 v81, 2, v28
	v_cmp_lt_u16_e64 s0, 25, v51
	s_waitcnt vmcnt(0) lgkmcnt(0)
	s_barrier
	v_mul_u32_u24_sdwa v24, v70, v24 dst_sel:DWORD dst_unused:UNUSED_PAD src0_sel:WORD_0 src1_sel:DWORD
	v_and_b32_e32 v70, 0xffff, v96
	v_cndmask_b32_e64 v78, 0, 0x138, s0
	buffer_gl0_inv
	v_add_nc_u32_sdwa v24, v24, v95 dst_sel:DWORD dst_unused:UNUSED_PAD src0_sel:DWORD src1_sel:BYTE_0
	v_lshl_add_u32 v70, v70, 2, v55
	v_add_nc_u32_e32 v21, v21, v78
	v_lshl_add_u32 v78, v24, 2, v55
	v_lshrrev_b32_e32 v24, 16, v22
	v_lshrrev_b32_e32 v28, 16, v26
	;; [unrolled: 1-line block ×12, first 2 shown]
	v_lshl_add_u32 v79, v21, 2, v55
	v_add_nc_u32_e32 v21, 0x800, v70
	v_mul_f16_sdwa v101, v28, v19 dst_sel:DWORD dst_unused:UNUSED_PAD src0_sel:DWORD src1_sel:WORD_1
	v_mul_f16_sdwa v102, v26, v19 dst_sel:DWORD dst_unused:UNUSED_PAD src0_sel:DWORD src1_sel:WORD_1
	;; [unrolled: 1-line block ×16, first 2 shown]
	v_fma_f16 v26, v26, v19, -v101
	v_fmac_f16_e32 v102, v28, v19
	v_fma_f16 v28, v39, v20, -v103
	v_fmac_f16_e32 v104, v91, v20
	;; [unrolled: 2-line block ×8, first 2 shown]
	v_add_f16_e32 v91, v26, v28
	v_add_f16_e32 v96, v102, v104
	v_sub_f16_e32 v93, v102, v104
	v_add_f16_e32 v94, v24, v102
	v_add_f16_e32 v99, v27, v39
	;; [unrolled: 1-line block ×6, first 2 shown]
	v_sub_f16_e32 v26, v26, v28
	v_add_f16_e32 v97, v23, v27
	v_sub_f16_e32 v100, v106, v108
	v_add_f16_e32 v101, v92, v106
	;; [unrolled: 2-line block ×3, first 2 shown]
	v_add_f16_e32 v110, v85, v87
	v_add_f16_e32 v111, v87, v88
	v_sub_f16_e32 v113, v114, v116
	v_add_f16_e32 v115, v98, v114
	v_add_f16_e32 v114, v114, v116
	v_fma_f16 v22, -0.5, v91, v22
	v_fmac_f16_e32 v24, -0.5, v96
	v_sub_f16_e32 v27, v27, v39
	v_fmac_f16_e32 v23, -0.5, v99
	v_fmac_f16_e32 v92, -0.5, v102
	v_add_f16_e32 v103, v84, v40
	v_sub_f16_e32 v40, v40, v86
	v_fma_f16 v84, -0.5, v105, v84
	v_fmac_f16_e32 v95, -0.5, v109
	v_sub_f16_e32 v87, v87, v88
	v_add_f16_e32 v28, v89, v28
	v_add_f16_e32 v89, v94, v104
	;; [unrolled: 1-line block ×4, first 2 shown]
	v_fmac_f16_e32 v85, -0.5, v111
	v_add_f16_e32 v96, v115, v116
	v_fmac_f16_e32 v98, -0.5, v114
	v_fmamk_f16 v97, v93, 0x3aee, v22
	v_fmac_f16_e32 v22, 0xbaee, v93
	v_fmamk_f16 v93, v26, 0xbaee, v24
	v_fmac_f16_e32 v24, 0x3aee, v26
	v_add_f16_e32 v91, v101, v108
	v_fmamk_f16 v26, v100, 0x3aee, v23
	v_fmamk_f16 v99, v27, 0xbaee, v92
	v_fmac_f16_e32 v23, 0xbaee, v100
	v_fmac_f16_e32 v92, 0x3aee, v27
	v_add_f16_e32 v86, v103, v86
	v_add_f16_e32 v94, v107, v112
	v_fmamk_f16 v27, v106, 0x3aee, v84
	v_fmac_f16_e32 v84, 0xbaee, v106
	v_fmamk_f16 v100, v40, 0xbaee, v95
	v_fmac_f16_e32 v95, 0x3aee, v40
	;; [unrolled: 2-line block ×4, first 2 shown]
	v_pack_b32_f16 v28, v28, v89
	v_pack_b32_f16 v87, v88, v96
	v_pack_b32_f16 v88, v97, v93
	v_pack_b32_f16 v22, v22, v24
	v_pack_b32_f16 v39, v39, v91
	v_pack_b32_f16 v24, v26, v99
	v_pack_b32_f16 v23, v23, v92
	v_pack_b32_f16 v86, v86, v94
	v_pack_b32_f16 v26, v27, v100
	v_pack_b32_f16 v27, v84, v95
	v_pack_b32_f16 v40, v40, v101
	v_pack_b32_f16 v84, v85, v98
	ds_write2_b32 v50, v28, v88 offset1:104
	ds_write_b32 v50, v22 offset:832
	ds_write2_b32 v79, v39, v24 offset1:104
	ds_write_b32 v79, v23 offset:832
	;; [unrolled: 2-line block ×3, first 2 shown]
	ds_write2_b32 v21, v87, v40 offset0:112 offset1:216
	ds_write_b32 v70, v84 offset:3328
	s_waitcnt lgkmcnt(0)
	s_barrier
	buffer_gl0_inv
	global_load_dwordx2 v[27:28], v90, s[14:15] offset:1240
	v_lshlrev_b32_e32 v21, 3, v25
	global_load_dwordx2 v[25:26], v81, s[14:15] offset:1240
	v_lshlrev_b32_e32 v22, 3, v36
	s_clause 0x1
	global_load_dwordx2 v[23:24], v21, s[14:15] offset:1240
	global_load_dwordx2 v[21:22], v22, s[14:15] offset:1240
	ds_read2_b32 v[39:40], v50 offset1:78
	ds_read2_b32 v[84:85], v83 offset0:56 offset1:134
	ds_read2_b32 v[86:87], v82 offset0:112 offset1:190
	;; [unrolled: 1-line block ×5, first 2 shown]
	v_lshlrev_b32_e32 v36, 2, v51
	v_lshl_add_u32 v81, v51, 2, v55
	v_add_co_u32 v36, s0, s12, v36
	v_add_co_ci_u32_e64 v100, null, s13, 0, s0
	v_add_co_u32 v94, s0, 0xea0, v36
	v_add_co_ci_u32_e64 v95, s0, 0, v100, s0
	v_add_co_u32 v96, s0, 0x800, v36
	s_waitcnt lgkmcnt(5)
	v_lshrrev_b32_e32 v101, 16, v39
	s_waitcnt lgkmcnt(4)
	v_lshrrev_b32_e32 v102, 16, v84
	;; [unrolled: 2-line block ×3, first 2 shown]
	v_lshrrev_b32_e32 v105, 16, v85
	v_lshrrev_b32_e32 v106, 16, v87
	s_waitcnt lgkmcnt(1)
	v_lshrrev_b32_e32 v108, 16, v90
	s_waitcnt lgkmcnt(0)
	v_lshrrev_b32_e32 v109, 16, v92
	v_lshrrev_b32_e32 v111, 16, v91
	;; [unrolled: 1-line block ×6, first 2 shown]
	v_add_co_ci_u32_e64 v97, s0, 0, v100, s0
	v_add_co_u32 v98, s0, 0x1000, v36
	v_add_co_ci_u32_e64 v99, s0, 0, v100, s0
	s_waitcnt vmcnt(3)
	v_mul_f16_sdwa v113, v102, v27 dst_sel:DWORD dst_unused:UNUSED_PAD src0_sel:DWORD src1_sel:WORD_1
	v_mul_f16_sdwa v114, v84, v27 dst_sel:DWORD dst_unused:UNUSED_PAD src0_sel:DWORD src1_sel:WORD_1
	v_mul_f16_sdwa v115, v103, v28 dst_sel:DWORD dst_unused:UNUSED_PAD src0_sel:DWORD src1_sel:WORD_1
	v_mul_f16_sdwa v116, v86, v28 dst_sel:DWORD dst_unused:UNUSED_PAD src0_sel:DWORD src1_sel:WORD_1
	s_waitcnt vmcnt(2)
	v_mul_f16_sdwa v117, v105, v25 dst_sel:DWORD dst_unused:UNUSED_PAD src0_sel:DWORD src1_sel:WORD_1
	v_mul_f16_sdwa v118, v85, v25 dst_sel:DWORD dst_unused:UNUSED_PAD src0_sel:DWORD src1_sel:WORD_1
	v_mul_f16_sdwa v119, v106, v26 dst_sel:DWORD dst_unused:UNUSED_PAD src0_sel:DWORD src1_sel:WORD_1
	v_mul_f16_sdwa v120, v87, v26 dst_sel:DWORD dst_unused:UNUSED_PAD src0_sel:DWORD src1_sel:WORD_1
	s_waitcnt vmcnt(1)
	v_mul_f16_sdwa v121, v108, v23 dst_sel:DWORD dst_unused:UNUSED_PAD src0_sel:DWORD src1_sel:WORD_1
	v_mul_f16_sdwa v122, v90, v23 dst_sel:DWORD dst_unused:UNUSED_PAD src0_sel:DWORD src1_sel:WORD_1
	v_mul_f16_sdwa v123, v109, v24 dst_sel:DWORD dst_unused:UNUSED_PAD src0_sel:DWORD src1_sel:WORD_1
	v_mul_f16_sdwa v124, v92, v24 dst_sel:DWORD dst_unused:UNUSED_PAD src0_sel:DWORD src1_sel:WORD_1
	s_waitcnt vmcnt(0)
	v_mul_f16_sdwa v125, v111, v21 dst_sel:DWORD dst_unused:UNUSED_PAD src0_sel:DWORD src1_sel:WORD_1
	v_mul_f16_sdwa v126, v91, v21 dst_sel:DWORD dst_unused:UNUSED_PAD src0_sel:DWORD src1_sel:WORD_1
	v_mul_f16_sdwa v127, v112, v22 dst_sel:DWORD dst_unused:UNUSED_PAD src0_sel:DWORD src1_sel:WORD_1
	v_mul_f16_sdwa v128, v93, v22 dst_sel:DWORD dst_unused:UNUSED_PAD src0_sel:DWORD src1_sel:WORD_1
	v_fma_f16 v84, v84, v27, -v113
	v_fmac_f16_e32 v114, v102, v27
	v_fma_f16 v86, v86, v28, -v115
	v_fmac_f16_e32 v116, v103, v28
	v_fma_f16 v85, v85, v25, -v117
	v_fmac_f16_e32 v118, v105, v25
	v_fma_f16 v87, v87, v26, -v119
	v_fmac_f16_e32 v120, v106, v26
	v_fma_f16 v90, v90, v23, -v121
	v_fmac_f16_e32 v122, v108, v23
	v_fma_f16 v92, v92, v24, -v123
	v_fmac_f16_e32 v124, v109, v24
	v_fma_f16 v91, v91, v21, -v125
	v_fmac_f16_e32 v126, v111, v21
	v_fma_f16 v93, v93, v22, -v127
	v_fmac_f16_e32 v128, v112, v22
	v_add_f16_e32 v103, v84, v86
	v_add_f16_e32 v108, v114, v116
	v_sub_f16_e32 v105, v114, v116
	v_add_f16_e32 v106, v101, v114
	v_add_f16_e32 v111, v85, v87
	;; [unrolled: 1-line block ×4, first 2 shown]
	v_sub_f16_e32 v84, v84, v86
	v_add_f16_e32 v109, v40, v85
	v_sub_f16_e32 v112, v118, v120
	v_add_f16_e32 v113, v104, v118
	v_add_f16_e32 v115, v88, v90
	;; [unrolled: 1-line block ×3, first 2 shown]
	v_sub_f16_e32 v118, v122, v124
	v_add_f16_e32 v119, v107, v122
	v_add_f16_e32 v121, v122, v124
	v_add_f16_e32 v122, v89, v91
	v_add_f16_e32 v123, v91, v93
	v_sub_f16_e32 v125, v126, v128
	v_add_f16_e32 v127, v110, v126
	v_add_f16_e32 v126, v126, v128
	v_fma_f16 v39, -0.5, v103, v39
	v_fmac_f16_e32 v101, -0.5, v108
	v_sub_f16_e32 v85, v85, v87
	v_fmac_f16_e32 v40, -0.5, v111
	v_fmac_f16_e32 v104, -0.5, v114
	v_sub_f16_e32 v90, v90, v92
	v_sub_f16_e32 v91, v91, v93
	v_add_f16_e32 v86, v102, v86
	v_add_f16_e32 v102, v106, v116
	;; [unrolled: 1-line block ×4, first 2 shown]
	v_fma_f16 v88, -0.5, v117, v88
	v_add_f16_e32 v106, v119, v124
	v_fmac_f16_e32 v107, -0.5, v121
	v_add_f16_e32 v93, v122, v93
	v_fmac_f16_e32 v89, -0.5, v123
	v_add_f16_e32 v108, v127, v128
	v_fmac_f16_e32 v110, -0.5, v126
	v_fmamk_f16 v109, v105, 0x3aee, v39
	v_fmac_f16_e32 v39, 0xbaee, v105
	v_fmamk_f16 v105, v84, 0xbaee, v101
	v_fmac_f16_e32 v101, 0x3aee, v84
	v_add_f16_e32 v103, v113, v120
	v_fmamk_f16 v84, v112, 0x3aee, v40
	v_fmamk_f16 v111, v85, 0xbaee, v104
	v_fmac_f16_e32 v40, 0xbaee, v112
	v_fmac_f16_e32 v104, 0x3aee, v85
	v_fmamk_f16 v85, v118, 0x3aee, v88
	v_fmac_f16_e32 v88, 0xbaee, v118
	v_fmamk_f16 v112, v90, 0xbaee, v107
	;; [unrolled: 2-line block ×4, first 2 shown]
	v_fmac_f16_e32 v110, 0x3aee, v91
	v_pack_b32_f16 v91, v92, v106
	v_pack_b32_f16 v92, v93, v108
	;; [unrolled: 1-line block ×12, first 2 shown]
	ds_write_b32 v50, v93 offset:1248
	ds_write_b32 v81, v39 offset:2496
	ds_write2_b32 v50, v86, v87 offset1:78
	ds_write_b32 v81, v84 offset:1560
	ds_write_b32 v81, v40 offset:2808
	ds_write2_b32 v50, v91, v92 offset0:156 offset1:234
	ds_write2_b32 v38, v85, v90 offset0:84 offset1:162
	;; [unrolled: 1-line block ×3, first 2 shown]
	v_add_co_u32 v39, s0, 0x1800, v36
	s_waitcnt lgkmcnt(0)
	s_barrier
	buffer_gl0_inv
	s_clause 0x3
	global_load_dword v98, v[98:99], off offset:1832
	global_load_dword v96, v[96:97], off offset:1696
	;; [unrolled: 1-line block ×4, first 2 shown]
	v_add_co_ci_u32_e64 v40, s0, 0, v100, s0
	s_clause 0x7
	global_load_dword v36, v[94:95], off offset:624
	global_load_dword v100, v[39:40], off offset:96
	;; [unrolled: 1-line block ×8, first 2 shown]
	ds_read2_b32 v[39:40], v50 offset1:78
	ds_read2_b32 v[84:85], v38 offset0:84 offset1:162
	ds_read2_b32 v[86:87], v50 offset0:156 offset1:234
	;; [unrolled: 1-line block ×5, first 2 shown]
	s_waitcnt lgkmcnt(5)
	v_lshrrev_b32_e32 v105, 16, v39
	v_lshrrev_b32_e32 v107, 16, v40
	s_waitcnt lgkmcnt(4)
	v_lshrrev_b32_e32 v106, 16, v84
	v_lshrrev_b32_e32 v108, 16, v85
	s_waitcnt lgkmcnt(3)
	v_lshrrev_b32_e32 v109, 16, v86
	v_lshrrev_b32_e32 v111, 16, v87
	s_waitcnt lgkmcnt(2)
	v_lshrrev_b32_e32 v110, 16, v88
	v_lshrrev_b32_e32 v112, 16, v89
	s_waitcnt lgkmcnt(1)
	v_lshrrev_b32_e32 v113, 16, v90
	s_waitcnt lgkmcnt(0)
	v_lshrrev_b32_e32 v114, 16, v92
	v_lshrrev_b32_e32 v115, 16, v91
	;; [unrolled: 1-line block ×3, first 2 shown]
	s_waitcnt vmcnt(11)
	v_mul_f16_sdwa v123, v108, v98 dst_sel:DWORD dst_unused:UNUSED_PAD src0_sel:DWORD src1_sel:WORD_1
	s_waitcnt vmcnt(10)
	v_mul_f16_sdwa v117, v105, v96 dst_sel:DWORD dst_unused:UNUSED_PAD src0_sel:DWORD src1_sel:WORD_1
	v_mul_f16_sdwa v118, v39, v96 dst_sel:DWORD dst_unused:UNUSED_PAD src0_sel:DWORD src1_sel:WORD_1
	s_waitcnt vmcnt(8)
	v_mul_f16_sdwa v121, v107, v99 dst_sel:DWORD dst_unused:UNUSED_PAD src0_sel:DWORD src1_sel:WORD_1
	v_mul_f16_sdwa v122, v40, v99 dst_sel:DWORD dst_unused:UNUSED_PAD src0_sel:DWORD src1_sel:WORD_1
	;; [unrolled: 1-line block ×5, first 2 shown]
	s_waitcnt vmcnt(7)
	v_mul_f16_sdwa v125, v109, v36 dst_sel:DWORD dst_unused:UNUSED_PAD src0_sel:DWORD src1_sel:WORD_1
	v_mul_f16_sdwa v126, v86, v36 dst_sel:DWORD dst_unused:UNUSED_PAD src0_sel:DWORD src1_sel:WORD_1
	s_waitcnt vmcnt(5)
	v_mul_f16_sdwa v129, v111, v101 dst_sel:DWORD dst_unused:UNUSED_PAD src0_sel:DWORD src1_sel:WORD_1
	v_mul_f16_sdwa v130, v87, v101 dst_sel:DWORD dst_unused:UNUSED_PAD src0_sel:DWORD src1_sel:WORD_1
	;; [unrolled: 1-line block ×4, first 2 shown]
	s_waitcnt vmcnt(4)
	v_mul_f16_sdwa v131, v112, v102 dst_sel:DWORD dst_unused:UNUSED_PAD src0_sel:DWORD src1_sel:WORD_1
	v_mul_f16_sdwa v132, v89, v102 dst_sel:DWORD dst_unused:UNUSED_PAD src0_sel:DWORD src1_sel:WORD_1
	s_waitcnt vmcnt(3)
	v_mul_f16_sdwa v133, v113, v103 dst_sel:DWORD dst_unused:UNUSED_PAD src0_sel:DWORD src1_sel:WORD_1
	v_mul_f16_sdwa v134, v90, v103 dst_sel:DWORD dst_unused:UNUSED_PAD src0_sel:DWORD src1_sel:WORD_1
	;; [unrolled: 3-line block ×5, first 2 shown]
	v_fma_f16 v39, v39, v96, -v117
	v_fmac_f16_e32 v118, v105, v96
	v_fma_f16 v40, v40, v99, -v121
	v_fmac_f16_e32 v122, v107, v99
	;; [unrolled: 2-line block ×12, first 2 shown]
	v_pack_b32_f16 v39, v39, v118
	v_pack_b32_f16 v40, v40, v122
	;; [unrolled: 1-line block ×12, first 2 shown]
	ds_write2_b32 v50, v39, v40 offset1:78
	ds_write2_b32 v38, v84, v85 offset0:84 offset1:162
	ds_write2_b32 v50, v86, v87 offset0:156 offset1:234
	;; [unrolled: 1-line block ×5, first 2 shown]
	s_waitcnt lgkmcnt(0)
	s_barrier
	buffer_gl0_inv
	ds_read2_b32 v[39:40], v50 offset1:78
	ds_read2_b32 v[84:85], v38 offset0:84 offset1:162
	ds_read2_b32 v[86:87], v50 offset0:156 offset1:234
	;; [unrolled: 1-line block ×5, first 2 shown]
	s_waitcnt lgkmcnt(0)
	s_barrier
	buffer_gl0_inv
	v_pk_add_f16 v94, v39, v84 neg_lo:[0,1] neg_hi:[0,1]
	v_pk_add_f16 v85, v40, v85 neg_lo:[0,1] neg_hi:[0,1]
	;; [unrolled: 1-line block ×6, first 2 shown]
	v_pk_fma_f16 v93, v39, 2.0, v94 op_sel_hi:[1,0,1] neg_lo:[0,0,1] neg_hi:[0,0,1]
	v_pk_fma_f16 v84, v40, 2.0, v85 op_sel_hi:[1,0,1] neg_lo:[0,0,1] neg_hi:[0,0,1]
	;; [unrolled: 1-line block ×6, first 2 shown]
	ds_write_b64 v35, v[93:94]
	ds_write_b64 v34, v[84:85]
	;; [unrolled: 1-line block ×6, first 2 shown]
	s_waitcnt lgkmcnt(0)
	s_barrier
	buffer_gl0_inv
	ds_read2_b32 v[96:97], v50 offset1:78
	ds_read2_b32 v[30:31], v38 offset0:84 offset1:162
	ds_read2_b32 v[98:99], v50 offset0:156 offset1:234
	;; [unrolled: 1-line block ×5, first 2 shown]
	s_waitcnt lgkmcnt(0)
	s_barrier
	buffer_gl0_inv
	v_lshrrev_b32_e32 v36, 16, v96
	v_lshrrev_b32_e32 v37, 16, v30
	;; [unrolled: 1-line block ×6, first 2 shown]
	v_mul_f16_sdwa v89, v29, v30 dst_sel:DWORD dst_unused:UNUSED_PAD src0_sel:WORD_1 src1_sel:DWORD
	v_lshrrev_b32_e32 v88, 16, v35
	v_mul_f16_sdwa v91, v29, v32 dst_sel:DWORD dst_unused:UNUSED_PAD src0_sel:WORD_1 src1_sel:DWORD
	v_mul_f16_sdwa v103, v29, v37 dst_sel:DWORD dst_unused:UNUSED_PAD src0_sel:WORD_1 src1_sel:DWORD
	;; [unrolled: 1-line block ×8, first 2 shown]
	v_fma_f16 v37, v29, v37, -v89
	v_mul_f16_sdwa v107, v29, v87 dst_sel:DWORD dst_unused:UNUSED_PAD src0_sel:WORD_1 src1_sel:DWORD
	v_lshrrev_b32_e32 v40, 16, v98
	v_mul_f16_sdwa v95, v29, v35 dst_sel:DWORD dst_unused:UNUSED_PAD src0_sel:WORD_1 src1_sel:DWORD
	v_fma_f16 v84, v29, v84, -v91
	v_mul_f16_sdwa v108, v29, v88 dst_sel:DWORD dst_unused:UNUSED_PAD src0_sel:WORD_1 src1_sel:DWORD
	v_fmac_f16_e32 v103, v29, v30
	v_lshrrev_b32_e32 v39, 16, v97
	v_fma_f16 v38, v29, v38, -v90
	v_fmac_f16_e32 v104, v29, v31
	v_fmac_f16_e32 v105, v29, v32
	v_lshrrev_b32_e32 v86, 16, v99
	v_fma_f16 v89, v29, v85, -v92
	v_fmac_f16_e32 v106, v29, v33
	v_lshrrev_b32_e32 v94, 16, v100
	v_fma_f16 v91, v29, v87, -v93
	v_fmac_f16_e32 v107, v29, v34
	v_sub_f16_e32 v90, v36, v37
	v_lshrrev_b32_e32 v102, 16, v101
	v_fma_f16 v88, v29, v88, -v95
	v_fmac_f16_e32 v108, v29, v35
	v_sub_f16_e32 v85, v40, v84
	v_sub_f16_e32 v30, v96, v103
	;; [unrolled: 1-line block ×8, first 2 shown]
	v_fma_f16 v84, v36, 2.0, -v90
	v_sub_f16_e32 v36, v100, v107
	v_sub_f16_e32 v95, v102, v88
	v_fma_f16 v91, v40, 2.0, -v85
	v_sub_f16_e32 v40, v101, v108
	v_fma_f16 v29, v96, 2.0, -v30
	v_fma_f16 v93, v39, 2.0, -v92
	;; [unrolled: 1-line block ×10, first 2 shown]
	v_pack_b32_f16 v96, v30, v90
	v_pack_b32_f16 v102, v29, v84
	;; [unrolled: 1-line block ×12, first 2 shown]
	ds_write2_b32 v58, v102, v96 offset1:2
	ds_write2_b32 v59, v103, v97 offset1:2
	;; [unrolled: 1-line block ×6, first 2 shown]
	s_waitcnt lgkmcnt(0)
	s_barrier
	buffer_gl0_inv
	s_and_saveexec_b32 s0, vcc_lo
	s_cbranch_execz .LBB0_7
; %bb.6:
	v_add_nc_u32_e32 v39, 0xa00, v50
	ds_read2_b32 v[29:30], v50 offset1:72
	ds_read2_b32 v[37:38], v50 offset0:144 offset1:216
	ds_read2_b32 v[33:34], v83 offset0:32 offset1:104
	;; [unrolled: 1-line block ×5, first 2 shown]
	ds_read_b32 v77, v50 offset:3456
	s_waitcnt lgkmcnt(6)
	v_lshrrev_b32_e32 v84, 16, v29
	v_lshrrev_b32_e32 v90, 16, v30
	s_waitcnt lgkmcnt(5)
	v_lshrrev_b32_e32 v93, 16, v37
	v_lshrrev_b32_e32 v92, 16, v38
	;; [unrolled: 3-line block ×6, first 2 shown]
	s_waitcnt lgkmcnt(0)
	v_lshrrev_b32_e32 v80, 16, v77
.LBB0_7:
	s_or_b32 exec_lo, exec_lo, s0
	v_add_nc_u32_e32 v59, 0x270, v50
	v_add_nc_u32_e32 v58, 0x3a8, v50
	s_barrier
	buffer_gl0_inv
	s_and_saveexec_b32 s0, vcc_lo
	s_cbranch_execz .LBB0_9
; %bb.8:
	v_mul_f16_sdwa v62, v4, v90 dst_sel:DWORD dst_unused:UNUSED_PAD src0_sel:WORD_1 src1_sel:DWORD
	v_mul_f16_sdwa v60, v11, v80 dst_sel:DWORD dst_unused:UNUSED_PAD src0_sel:WORD_1 src1_sel:DWORD
	;; [unrolled: 1-line block ×5, first 2 shown]
	v_fmac_f16_e32 v62, v4, v30
	v_fmac_f16_e32 v60, v11, v77
	v_mul_f16_sdwa v77, v5, v93 dst_sel:DWORD dst_unused:UNUSED_PAD src0_sel:WORD_1 src1_sel:DWORD
	v_mul_f16_sdwa v30, v10, v95 dst_sel:DWORD dst_unused:UNUSED_PAD src0_sel:WORD_1 src1_sel:DWORD
	v_fma_f16 v11, v11, v80, -v61
	v_fma_f16 v63, v4, v90, -v63
	v_sub_f16_e32 v61, v62, v60
	v_mul_f16_sdwa v4, v10, v40 dst_sel:DWORD dst_unused:UNUSED_PAD src0_sel:WORD_1 src1_sel:DWORD
	v_fmac_f16_e32 v77, v5, v37
	v_fmac_f16_e32 v30, v10, v40
	v_add_f16_e32 v90, v11, v63
	v_mul_f16_e32 v99, 0xba95, v61
	v_mul_f16_sdwa v80, v6, v92 dst_sel:DWORD dst_unused:UNUSED_PAD src0_sel:WORD_1 src1_sel:DWORD
	v_fma_f16 v4, v10, v95, -v4
	v_sub_f16_e32 v40, v77, v30
	v_fma_f16 v82, v5, v93, -v82
	v_mul_f16_sdwa v37, v9, v94 dst_sel:DWORD dst_unused:UNUSED_PAD src0_sel:WORD_1 src1_sel:DWORD
	v_fmamk_f16 v83, v90, 0x388b, v99
	v_fmac_f16_e32 v80, v6, v38
	v_mul_f16_sdwa v5, v9, v39 dst_sel:DWORD dst_unused:UNUSED_PAD src0_sel:WORD_1 src1_sel:DWORD
	v_mul_f16_sdwa v38, v6, v38 dst_sel:DWORD dst_unused:UNUSED_PAD src0_sel:WORD_1 src1_sel:DWORD
	v_mul_f16_e32 v107, 0xbb7b, v40
	v_add_f16_e32 v93, v4, v82
	v_fmac_f16_e32 v37, v9, v39
	v_fma_f16 v5, v9, v94, -v5
	v_fma_f16 v38, v6, v92, -v38
	v_add_f16_e32 v6, v84, v83
	v_fmamk_f16 v83, v93, 0xb5ac, v107
	v_mul_f16_sdwa v39, v7, v91 dst_sel:DWORD dst_unused:UNUSED_PAD src0_sel:WORD_1 src1_sel:DWORD
	v_mul_f16_sdwa v9, v8, v89 dst_sel:DWORD dst_unused:UNUSED_PAD src0_sel:WORD_1 src1_sel:DWORD
	v_sub_f16_e32 v10, v80, v37
	v_mul_f16_sdwa v96, v7, v33 dst_sel:DWORD dst_unused:UNUSED_PAD src0_sel:WORD_1 src1_sel:DWORD
	v_add_f16_e32 v92, v83, v6
	v_fmac_f16_e32 v39, v7, v33
	v_fmac_f16_e32 v9, v8, v36
	v_mul_f16_sdwa v83, v8, v36 dst_sel:DWORD dst_unused:UNUSED_PAD src0_sel:WORD_1 src1_sel:DWORD
	v_mul_f16_sdwa v36, v0, v85 dst_sel:DWORD dst_unused:UNUSED_PAD src0_sel:WORD_1 src1_sel:DWORD
	;; [unrolled: 1-line block ×3, first 2 shown]
	v_mul_f16_e32 v104, 0xb3a8, v10
	v_add_f16_e32 v94, v5, v38
	v_sub_f16_e32 v6, v39, v9
	v_fma_f16 v8, v8, v89, -v83
	v_fma_f16 v83, v7, v91, -v96
	v_fmac_f16_e32 v36, v0, v34
	v_fmac_f16_e32 v33, v3, v35
	v_mul_f16_sdwa v35, v3, v35 dst_sel:DWORD dst_unused:UNUSED_PAD src0_sel:WORD_1 src1_sel:DWORD
	v_mul_f16_sdwa v34, v0, v34 dst_sel:DWORD dst_unused:UNUSED_PAD src0_sel:WORD_1 src1_sel:DWORD
	v_fmamk_f16 v95, v94, 0xbbc4, v104
	v_mul_f16_e32 v110, 0x394e, v6
	v_add_f16_e32 v101, v8, v83
	v_sub_f16_e32 v7, v36, v33
	v_fma_f16 v3, v3, v86, -v35
	v_fma_f16 v35, v0, v85, -v34
	v_add_f16_e32 v0, v95, v92
	v_fmamk_f16 v34, v101, 0xb9fd, v110
	v_mul_f16_e32 v109, 0x3bf1, v7
	v_sub_f16_e32 v108, v63, v11
	v_add_f16_e32 v92, v3, v35
	v_mul_f16_sdwa v86, v1, v88 dst_sel:DWORD dst_unused:UNUSED_PAD src0_sel:WORD_1 src1_sel:DWORD
	v_add_f16_e32 v0, v34, v0
	v_mul_f16_sdwa v85, v2, v87 dst_sel:DWORD dst_unused:UNUSED_PAD src0_sel:WORD_1 src1_sel:DWORD
	v_mul_f16_e32 v113, 0xba95, v108
	v_fmamk_f16 v34, v92, 0x2fb7, v109
	v_sub_f16_e32 v102, v82, v4
	v_fmac_f16_e32 v86, v1, v31
	v_fmac_f16_e32 v85, v2, v32
	v_mul_f16_sdwa v32, v2, v32 dst_sel:DWORD dst_unused:UNUSED_PAD src0_sel:WORD_1 src1_sel:DWORD
	v_add_f16_e32 v89, v34, v0
	v_add_f16_e32 v34, v60, v62
	v_mul_f16_sdwa v95, v1, v31 dst_sel:DWORD dst_unused:UNUSED_PAD src0_sel:WORD_1 src1_sel:DWORD
	v_add_f16_e32 v31, v30, v77
	v_mul_f16_e32 v114, 0xbb7b, v102
	v_sub_f16_e32 v98, v38, v5
	v_fma_f16 v96, v34, 0x388b, -v113
	v_sub_f16_e32 v0, v86, v85
	v_fma_f16 v91, v2, v87, -v32
	v_fma_f16 v95, v1, v88, -v95
	;; [unrolled: 1-line block ×3, first 2 shown]
	v_add_f16_e32 v1, v29, v96
	v_add_f16_e32 v2, v37, v80
	v_mul_f16_e32 v115, 0xb3a8, v98
	v_sub_f16_e32 v100, v83, v8
	v_mul_f16_e32 v112, 0x3770, v0
	v_add_f16_e32 v97, v91, v95
	v_add_f16_e32 v1, v32, v1
	v_fma_f16 v87, v2, 0xbbc4, -v115
	v_add_f16_e32 v32, v9, v39
	v_mul_f16_e32 v116, 0x394e, v100
	v_fmamk_f16 v88, v97, 0x3b15, v112
	v_sub_f16_e32 v103, v35, v3
	v_add_f16_e32 v96, v87, v1
	v_mul_f16_e32 v117, 0xbbf1, v61
	v_fma_f16 v105, v32, 0xb9fd, -v116
	v_add_f16_e32 v1, v88, v89
	v_add_f16_e32 v87, v33, v36
	v_mul_f16_e32 v118, 0x3bf1, v103
	v_sub_f16_e32 v106, v95, v91
	v_add_f16_e32 v89, v105, v96
	v_fmamk_f16 v96, v90, 0x2fb7, v117
	v_mul_f16_e32 v119, 0xb3a8, v40
	v_fma_f16 v105, v87, 0x2fb7, -v118
	v_add_f16_e32 v88, v85, v86
	v_mul_f16_e32 v120, 0x3770, v106
	v_add_f16_e32 v96, v84, v96
	v_fmamk_f16 v111, v93, 0xbbc4, v119
	v_mul_f16_e32 v121, 0x3b7b, v10
	v_add_f16_e32 v89, v105, v89
	v_fma_f16 v105, v88, 0x3b15, -v120
	v_mul_f16_e32 v122, 0xbbf1, v108
	v_add_f16_e32 v96, v111, v96
	v_fmamk_f16 v111, v94, 0xb5ac, v121
	v_mul_f16_e32 v123, 0x3770, v6
	v_add_f16_e32 v89, v105, v89
	v_fma_f16 v105, v34, 0x2fb7, -v122
	v_mul_f16_e32 v124, 0xb3a8, v102
	v_add_f16_e32 v96, v111, v96
	v_fmamk_f16 v111, v101, 0x3b15, v123
	v_mul_f16_e32 v125, 0xba95, v7
	v_add_f16_e32 v105, v29, v105
	v_fma_f16 v126, v31, 0xbbc4, -v124
	v_mul_f16_e32 v127, 0x3b7b, v98
	v_add_f16_e32 v96, v111, v96
	v_fmamk_f16 v111, v92, 0x388b, v125
	v_mul_f16_e32 v128, 0xb94e, v0
	v_add_f16_e32 v105, v126, v105
	v_fma_f16 v126, v2, 0xb5ac, -v127
	v_mul_f16_e32 v129, 0x3770, v100
	v_add_f16_e32 v96, v111, v96
	v_fmamk_f16 v111, v97, 0xb9fd, v128
	v_mul_f16_e32 v130, 0xbb7b, v61
	v_add_f16_e32 v105, v126, v105
	v_fma_f16 v126, v32, 0x3b15, -v129
	v_mul_f16_e32 v131, 0xba95, v103
	v_add_f16_e32 v96, v111, v96
	v_fmamk_f16 v111, v90, 0xb5ac, v130
	v_mul_f16_e32 v132, 0x394e, v40
	v_add_f16_e32 v105, v126, v105
	v_fma_f16 v126, v87, 0x388b, -v131
	v_mul_f16_e32 v133, 0xb94e, v106
	v_add_f16_e32 v111, v84, v111
	v_fmamk_f16 v134, v93, 0xb9fd, v132
	v_mul_f16_e32 v135, 0x3770, v10
	v_add_f16_e32 v105, v126, v105
	v_fma_f16 v126, v88, 0xb9fd, -v133
	v_mul_f16_e32 v136, 0xbb7b, v108
	v_add_f16_e32 v111, v134, v111
	v_fmamk_f16 v134, v94, 0x3b15, v135
	v_mul_f16_e32 v137, 0xbbf1, v6
	v_add_f16_e32 v105, v126, v105
	v_fma_f16 v126, v34, 0xb5ac, -v136
	v_mul_f16_e32 v138, 0x394e, v102
	v_add_f16_e32 v111, v134, v111
	v_fmamk_f16 v134, v101, 0x2fb7, v137
	v_mul_f16_e32 v139, 0x33a8, v7
	v_add_f16_e32 v126, v29, v126
	v_fma_f16 v140, v31, 0xb9fd, -v138
	v_mul_f16_e32 v141, 0x3770, v98
	v_add_f16_e32 v111, v134, v111
	v_fmamk_f16 v134, v92, 0xbbc4, v139
	v_mul_f16_e32 v142, 0x3a95, v0
	v_add_f16_e32 v126, v140, v126
	v_fma_f16 v140, v2, 0x3b15, -v141
	v_mul_f16_e32 v143, 0xbbf1, v100
	v_add_f16_e32 v111, v134, v111
	v_fmamk_f16 v134, v97, 0x388b, v142
	v_mul_f16_e32 v144, 0xb94e, v61
	v_add_f16_e32 v126, v140, v126
	v_fma_f16 v140, v32, 0x2fb7, -v143
	v_mul_f16_e32 v145, 0x33a8, v103
	v_add_f16_e32 v111, v134, v111
	v_fmamk_f16 v134, v90, 0xb9fd, v144
	v_mul_f16_e32 v146, 0x3bf1, v40
	v_add_f16_e32 v126, v140, v126
	v_fma_f16 v140, v87, 0xbbc4, -v145
	v_mul_f16_e32 v147, 0x3a95, v106
	v_add_f16_e32 v134, v84, v134
	v_fmamk_f16 v148, v93, 0x2fb7, v146
	v_mul_f16_e32 v149, 0xba95, v10
	v_add_f16_e32 v126, v140, v126
	v_fma_f16 v140, v88, 0x388b, -v147
	v_mul_f16_e32 v150, 0xb94e, v108
	v_add_f16_e32 v134, v148, v134
	v_fmamk_f16 v148, v94, 0x388b, v149
	v_mul_f16_e32 v151, 0x33a8, v6
	v_add_f16_e32 v126, v140, v126
	v_fma_f16 v140, v34, 0xb9fd, -v150
	v_mul_f16_e32 v152, 0x3bf1, v102
	v_add_f16_e32 v134, v148, v134
	v_fmamk_f16 v148, v101, 0xbbc4, v151
	v_mul_f16_e32 v153, 0x3770, v7
	v_fma_f16 v99, v90, 0x388b, -v99
	v_add_f16_e32 v140, v29, v140
	v_fma_f16 v154, v31, 0x2fb7, -v152
	v_mul_f16_e32 v155, 0xba95, v98
	v_add_f16_e32 v134, v148, v134
	v_fmamk_f16 v148, v92, 0x3b15, v153
	v_mul_f16_e32 v156, 0xbb7b, v0
	v_add_f16_e32 v62, v29, v62
	v_add_f16_e32 v99, v84, v99
	v_fma_f16 v107, v93, 0xb5ac, -v107
	v_add_f16_e32 v140, v154, v140
	v_fma_f16 v154, v2, 0x388b, -v155
	v_mul_f16_e32 v157, 0x33a8, v100
	v_add_f16_e32 v134, v148, v134
	v_fmamk_f16 v148, v97, 0xb5ac, v156
	v_mul_f16_e32 v158, 0xb3a8, v61
	v_add_f16_e32 v62, v77, v62
	v_fmac_f16_e32 v113, 0x388b, v34
	v_add_f16_e32 v99, v107, v99
	v_fma_f16 v104, v94, 0xbbc4, -v104
	v_add_f16_e32 v63, v63, v84
	v_add_f16_e32 v140, v154, v140
	v_fma_f16 v154, v32, 0xbbc4, -v157
	v_mul_f16_e32 v159, 0x3770, v103
	v_add_f16_e32 v134, v148, v134
	v_fmamk_f16 v148, v90, 0xbbc4, v158
	v_mul_f16_e32 v160, 0x3770, v40
	v_add_f16_e32 v62, v80, v62
	v_fma_f16 v158, v90, 0xbbc4, -v158
	v_fma_f16 v144, v90, 0xb9fd, -v144
	;; [unrolled: 1-line block ×4, first 2 shown]
	v_add_f16_e32 v113, v29, v113
	v_fmac_f16_e32 v114, 0xb5ac, v31
	v_add_f16_e32 v99, v104, v99
	v_fma_f16 v104, v101, 0xb9fd, -v110
	v_mul_f16_e32 v90, 0x3b15, v90
	v_add_f16_e32 v63, v82, v63
	v_add_f16_e32 v140, v154, v140
	v_fma_f16 v154, v87, 0x3b15, -v159
	v_mul_f16_e32 v161, 0xbb7b, v106
	v_add_f16_e32 v148, v84, v148
	v_fmamk_f16 v162, v93, 0x3b15, v160
	v_mul_f16_e32 v163, 0xb94e, v10
	v_add_f16_e32 v39, v39, v62
	v_add_f16_e32 v158, v84, v158
	v_fma_f16 v160, v93, 0x3b15, -v160
	v_add_f16_e32 v144, v84, v144
	v_fma_f16 v146, v93, 0x2fb7, -v146
	;; [unrolled: 2-line block ×4, first 2 shown]
	v_add_f16_e32 v110, v114, v113
	v_fmac_f16_e32 v115, 0xbbc4, v2
	v_add_f16_e32 v99, v104, v99
	v_fmamk_f16 v104, v61, 0x3770, v90
	v_mul_f16_e32 v93, 0x388b, v93
	v_add_f16_e32 v38, v38, v63
	v_add_f16_e32 v140, v154, v140
	v_fma_f16 v154, v88, 0xb5ac, -v161
	v_mul_f16_e32 v164, 0xb3a8, v108
	v_add_f16_e32 v148, v162, v148
	v_fmamk_f16 v162, v94, 0xb9fd, v163
	v_mul_f16_e32 v165, 0x3a95, v6
	v_add_f16_e32 v36, v36, v39
	v_add_f16_e32 v158, v160, v158
	v_fma_f16 v160, v94, 0xb9fd, -v163
	v_add_f16_e32 v144, v146, v144
	v_fma_f16 v146, v94, 0x388b, -v149
	;; [unrolled: 2-line block ×4, first 2 shown]
	v_fma_f16 v109, v92, 0x2fb7, -v109
	v_add_f16_e32 v110, v115, v110
	v_fmac_f16_e32 v116, 0xb9fd, v32
	v_add_f16_e32 v104, v84, v104
	v_fmamk_f16 v113, v40, 0x3a95, v93
	v_mul_f16_e32 v94, 0x2fb7, v94
	v_add_f16_e32 v38, v83, v38
	v_add_f16_e32 v140, v154, v140
	v_fma_f16 v154, v34, 0xbbc4, -v164
	v_mul_f16_e32 v166, 0x3770, v102
	v_add_f16_e32 v148, v162, v148
	v_fmamk_f16 v162, v101, 0x388b, v165
	v_mul_f16_e32 v167, 0xbb7b, v7
	v_add_f16_e32 v36, v86, v36
	v_add_f16_e32 v158, v160, v158
	v_fma_f16 v160, v101, 0x388b, -v165
	v_add_f16_e32 v144, v146, v144
	v_fma_f16 v146, v101, 0xbbc4, -v151
	;; [unrolled: 2-line block ×4, first 2 shown]
	v_add_f16_e32 v99, v109, v99
	v_add_f16_e32 v109, v116, v110
	;; [unrolled: 1-line block ×3, first 2 shown]
	v_fmamk_f16 v110, v10, 0x3bf1, v94
	v_fma_f16 v112, v97, 0x3b15, -v112
	v_mul_f16_e32 v101, 0xb5ac, v101
	v_mul_f16_e32 v108, 0xb770, v108
	v_add_f16_e32 v35, v35, v38
	v_add_f16_e32 v154, v29, v154
	v_fma_f16 v168, v31, 0x3b15, -v166
	v_mul_f16_e32 v169, 0xb94e, v98
	v_add_f16_e32 v148, v162, v148
	v_fmamk_f16 v162, v92, 0xb5ac, v167
	v_mul_f16_e32 v170, 0x3bf1, v0
	v_add_f16_e32 v36, v85, v36
	v_add_f16_e32 v104, v110, v104
	v_fmamk_f16 v110, v6, 0x3b7b, v101
	v_add_f16_e32 v99, v112, v99
	v_fmamk_f16 v112, v34, 0x3b15, v108
	v_mul_f16_e32 v102, 0xba95, v102
	v_add_f16_e32 v35, v95, v35
	v_add_f16_e32 v154, v168, v154
	v_fma_f16 v168, v2, 0xb9fd, -v169
	v_mul_f16_e32 v171, 0x3a95, v100
	v_add_f16_e32 v148, v162, v148
	v_fmamk_f16 v162, v97, 0x2fb7, v170
	v_fmac_f16_e32 v122, 0x2fb7, v34
	v_add_f16_e32 v33, v33, v36
	v_add_f16_e32 v158, v160, v158
	v_fma_f16 v160, v92, 0xb5ac, -v167
	v_fmac_f16_e32 v150, 0xb9fd, v34
	v_add_f16_e32 v144, v146, v144
	v_fma_f16 v146, v92, 0x3b15, -v153
	v_fmac_f16_e32 v136, 0xb5ac, v34
	v_add_f16_e32 v130, v132, v130
	v_fma_f16 v132, v92, 0xbbc4, -v139
	v_add_f16_e32 v117, v119, v117
	v_fma_f16 v119, v92, 0x388b, -v125
	v_add_f16_e32 v104, v110, v104
	v_mul_f16_e32 v92, 0xb9fd, v92
	v_add_f16_e32 v77, v29, v112
	v_fmamk_f16 v110, v31, 0x388b, v102
	v_mul_f16_e32 v98, 0xbbf1, v98
	v_add_f16_e32 v35, v91, v35
	v_fmac_f16_e32 v90, 0xb770, v61
	v_add_f16_e32 v154, v168, v154
	v_fma_f16 v168, v32, 0x388b, -v171
	v_add_f16_e32 v148, v162, v148
	v_mul_f16_e32 v162, 0xbb7b, v103
	v_fmac_f16_e32 v164, 0xbbc4, v34
	v_add_f16_e32 v122, v29, v122
	v_fmac_f16_e32 v124, 0xbbc4, v31
	v_add_f16_e32 v9, v9, v33
	v_fma_f16 v33, v34, 0x3b15, -v108
	v_add_f16_e32 v150, v29, v150
	v_fmac_f16_e32 v152, 0x2fb7, v31
	v_add_f16_e32 v136, v29, v136
	v_fmac_f16_e32 v138, 0xb9fd, v31
	v_fmamk_f16 v80, v7, 0x394e, v92
	v_add_f16_e32 v77, v110, v77
	v_fmamk_f16 v82, v2, 0x2fb7, v98
	v_mul_f16_e32 v62, 0xbb7b, v100
	v_add_f16_e32 v3, v3, v35
	v_add_f16_e32 v34, v84, v90
	v_fmac_f16_e32 v93, 0xba95, v40
	v_add_f16_e32 v154, v168, v154
	v_fma_f16 v163, v87, 0xb5ac, -v162
	v_mul_f16_e32 v168, 0x3bf1, v106
	v_add_f16_e32 v164, v29, v164
	v_fmac_f16_e32 v166, 0x3b15, v31
	v_add_f16_e32 v122, v124, v122
	v_fmac_f16_e32 v127, 0xb5ac, v2
	v_add_f16_e32 v29, v29, v33
	v_fma_f16 v31, v31, 0x388b, -v102
	v_add_f16_e32 v150, v152, v150
	v_fmac_f16_e32 v155, 0x388b, v2
	v_add_f16_e32 v136, v138, v136
	v_fmac_f16_e32 v141, 0x3b15, v2
	v_add_f16_e32 v63, v80, v104
	v_add_f16_e32 v77, v82, v77
	v_fmamk_f16 v39, v32, 0xb5ac, v62
	v_mul_f16_e32 v80, 0xb94e, v103
	v_add_f16_e32 v3, v8, v3
	v_add_f16_e32 v8, v93, v34
	v_fmac_f16_e32 v94, 0xbbf1, v10
	v_add_f16_e32 v154, v163, v154
	v_fma_f16 v163, v88, 0x2fb7, -v168
	v_add_f16_e32 v164, v166, v164
	v_fmac_f16_e32 v169, 0xb9fd, v2
	v_add_f16_e32 v122, v127, v122
	v_fmac_f16_e32 v129, 0x3b15, v32
	v_add_f16_e32 v10, v31, v29
	v_fma_f16 v2, v2, 0x2fb7, -v98
	v_add_f16_e32 v150, v155, v150
	v_fmac_f16_e32 v157, 0xbbc4, v32
	v_add_f16_e32 v130, v132, v130
	v_add_f16_e32 v132, v141, v136
	v_fmac_f16_e32 v143, 0x2fb7, v32
	v_mul_f16_e32 v82, 0xbbc4, v97
	v_add_f16_e32 v39, v39, v77
	v_fmamk_f16 v38, v87, 0xb9fd, v80
	v_mul_f16_e32 v77, 0xb3a8, v106
	v_add_f16_e32 v9, v37, v9
	v_add_f16_e32 v3, v5, v3
	;; [unrolled: 1-line block ×3, first 2 shown]
	v_fmac_f16_e32 v101, 0xbb7b, v6
	v_add_f16_e32 v154, v163, v154
	v_add_f16_e32 v163, v169, v164
	v_fmac_f16_e32 v171, 0x388b, v32
	v_add_f16_e32 v122, v129, v122
	v_fmac_f16_e32 v131, 0x388b, v87
	v_fmac_f16_e32 v118, 0x2fb7, v87
	v_add_f16_e32 v2, v2, v10
	v_fma_f16 v8, v32, 0xb5ac, -v62
	v_add_f16_e32 v135, v157, v150
	v_fmac_f16_e32 v159, 0x3b15, v87
	v_add_f16_e32 v121, v143, v132
	v_fmac_f16_e32 v145, 0xbbc4, v87
	v_fmamk_f16 v83, v0, 0x33a8, v82
	v_add_f16_e32 v38, v38, v39
	v_fmamk_f16 v39, v88, 0xbbc4, v77
	v_add_f16_e32 v9, v30, v9
	v_add_f16_e32 v3, v4, v3
	;; [unrolled: 1-line block ×3, first 2 shown]
	v_mul_u32_u24_e32 v5, 52, v57
	v_add_f16_e32 v163, v171, v163
	v_fmac_f16_e32 v162, 0xb5ac, v87
	v_add_f16_e32 v117, v119, v117
	v_fma_f16 v119, v97, 0xb9fd, -v128
	v_add_f16_e32 v107, v131, v122
	v_fmac_f16_e32 v133, 0xb9fd, v88
	v_add_f16_e32 v109, v118, v109
	v_fmac_f16_e32 v120, 0x3b15, v88
	v_fmac_f16_e32 v92, 0xb94e, v7
	v_add_f16_e32 v2, v8, v2
	v_fma_f16 v7, v87, 0xb9fd, -v80
	v_add_f16_e32 v144, v146, v144
	v_fma_f16 v146, v97, 0xb5ac, -v156
	v_add_f16_e32 v135, v159, v135
	v_fmac_f16_e32 v161, 0xb5ac, v88
	v_fma_f16 v136, v97, 0x388b, -v142
	v_add_f16_e32 v121, v145, v121
	v_fmac_f16_e32 v147, 0x388b, v88
	v_add_f16_e32 v36, v83, v63
	v_add_f16_e32 v38, v39, v38
	;; [unrolled: 1-line block ×4, first 2 shown]
	v_or_b32_e32 v5, v5, v56
	v_add_f16_e32 v158, v160, v158
	v_fma_f16 v160, v97, 0x2fb7, -v170
	v_add_f16_e32 v149, v162, v163
	v_fmac_f16_e32 v168, 0x2fb7, v88
	v_add_f16_e32 v117, v119, v117
	v_add_f16_e32 v107, v133, v107
	;; [unrolled: 1-line block ×4, first 2 shown]
	v_fmac_f16_e32 v82, 0xb3a8, v0
	v_add_f16_e32 v0, v7, v2
	v_fma_f16 v2, v88, 0xbbc4, -v77
	v_add_f16_e32 v144, v146, v144
	v_add_f16_e32 v135, v161, v135
	v_add_f16_e32 v123, v136, v130
	v_lshl_add_u32 v5, v5, 2, v55
	v_pack_b32_f16 v3, v6, v3
	v_pack_b32_f16 v6, v38, v36
	v_add_f16_e32 v9, v147, v121
	v_add_f16_e32 v158, v160, v158
	;; [unrolled: 1-line block ×3, first 2 shown]
	v_pack_b32_f16 v7, v109, v99
	v_pack_b32_f16 v8, v107, v117
	v_add_f16_e32 v4, v82, v4
	v_add_f16_e32 v0, v2, v0
	ds_write2_b32 v5, v3, v6 offset1:4
	ds_write2_b32 v5, v7, v8 offset0:8 offset1:12
	v_pack_b32_f16 v2, v9, v123
	v_pack_b32_f16 v3, v135, v144
	;; [unrolled: 1-line block ×9, first 2 shown]
	ds_write2_b32 v5, v2, v3 offset0:16 offset1:20
	ds_write2_b32 v5, v6, v7 offset0:24 offset1:28
	;; [unrolled: 1-line block ×4, first 2 shown]
	ds_write_b32 v5, v0 offset:192
.LBB0_9:
	s_or_b32 exec_lo, exec_lo, s0
	v_add_nc_u32_e32 v3, 0x600, v50
	v_add_nc_u32_e32 v2, 0x800, v50
	v_add_nc_u32_e32 v1, 0x400, v50
	v_add_nc_u32_e32 v0, 0xc00, v50
	s_waitcnt lgkmcnt(0)
	s_barrier
	buffer_gl0_inv
	ds_read2_b32 v[4:5], v50 offset1:78
	ds_read2_b32 v[6:7], v3 offset0:84 offset1:162
	ds_read2_b32 v[8:9], v50 offset0:156 offset1:234
	;; [unrolled: 1-line block ×5, first 2 shown]
	s_waitcnt lgkmcnt(0)
	s_barrier
	buffer_gl0_inv
	s_mov_b32 s4, 0x11811812
	s_mov_b32 s5, 0x3f518118
	s_mul_i32 s7, s8, 0xfffff9e8
	v_lshrrev_b32_e32 v33, 16, v4
	v_lshrrev_b32_e32 v37, 16, v6
	;; [unrolled: 1-line block ×4, first 2 shown]
	v_mul_f16_sdwa v60, v66, v6 dst_sel:DWORD dst_unused:UNUSED_PAD src0_sel:WORD_1 src1_sel:DWORD
	v_mul_f16_sdwa v62, v69, v7 dst_sel:DWORD dst_unused:UNUSED_PAD src0_sel:WORD_1 src1_sel:DWORD
	v_lshrrev_b32_e32 v40, 16, v11
	v_lshrrev_b32_e32 v56, 16, v31
	v_mul_f16_sdwa v77, v66, v37 dst_sel:DWORD dst_unused:UNUSED_PAD src0_sel:WORD_1 src1_sel:DWORD
	v_fma_f16 v37, v66, v37, -v60
	v_mul_f16_sdwa v60, v69, v38 dst_sel:DWORD dst_unused:UNUSED_PAD src0_sel:WORD_1 src1_sel:DWORD
	v_fma_f16 v38, v69, v38, -v62
	v_mul_f16_sdwa v62, v68, v39 dst_sel:DWORD dst_unused:UNUSED_PAD src0_sel:WORD_1 src1_sel:DWORD
	v_lshrrev_b32_e32 v61, 16, v32
	v_mul_f16_sdwa v63, v68, v10 dst_sel:DWORD dst_unused:UNUSED_PAD src0_sel:WORD_1 src1_sel:DWORD
	v_mul_f16_sdwa v80, v67, v40 dst_sel:DWORD dst_unused:UNUSED_PAD src0_sel:WORD_1 src1_sel:DWORD
	v_fmac_f16_e32 v77, v66, v6
	v_fmac_f16_e32 v62, v68, v10
	v_mul_f16_sdwa v10, v65, v56 dst_sel:DWORD dst_unused:UNUSED_PAD src0_sel:WORD_1 src1_sel:DWORD
	v_fmac_f16_e32 v60, v69, v7
	v_mul_f16_sdwa v6, v67, v11 dst_sel:DWORD dst_unused:UNUSED_PAD src0_sel:WORD_1 src1_sel:DWORD
	v_fma_f16 v7, v68, v39, -v63
	v_mul_f16_sdwa v39, v64, v61 dst_sel:DWORD dst_unused:UNUSED_PAD src0_sel:WORD_1 src1_sel:DWORD
	v_fmac_f16_e32 v80, v67, v11
	v_mul_f16_sdwa v11, v65, v31 dst_sel:DWORD dst_unused:UNUSED_PAD src0_sel:WORD_1 src1_sel:DWORD
	v_fmac_f16_e32 v10, v65, v31
	v_mul_f16_sdwa v31, v64, v32 dst_sel:DWORD dst_unused:UNUSED_PAD src0_sel:WORD_1 src1_sel:DWORD
	v_lshrrev_b32_e32 v34, 16, v5
	v_fma_f16 v6, v67, v40, -v6
	v_sub_f16_e32 v40, v4, v77
	v_fmac_f16_e32 v39, v64, v32
	v_sub_f16_e32 v32, v33, v37
	v_lshrrev_b32_e32 v35, 16, v8
	v_lshrrev_b32_e32 v36, 16, v9
	;; [unrolled: 1-line block ×3, first 2 shown]
	v_fma_f16 v11, v65, v56, -v11
	v_lshrrev_b32_e32 v57, 16, v30
	v_fma_f16 v31, v64, v61, -v31
	v_fma_f16 v4, v4, 2.0, -v40
	v_sub_f16_e32 v37, v5, v60
	v_sub_f16_e32 v38, v34, v38
	v_fma_f16 v33, v33, 2.0, -v32
	v_sub_f16_e32 v56, v8, v62
	v_sub_f16_e32 v7, v35, v7
	;; [unrolled: 1-line block ×8, first 2 shown]
	v_fma_f16 v5, v5, 2.0, -v37
	v_fma_f16 v34, v34, 2.0, -v38
	v_pack_b32_f16 v4, v4, v33
	v_pack_b32_f16 v32, v40, v32
	v_fma_f16 v8, v8, 2.0, -v56
	v_fma_f16 v35, v35, 2.0, -v7
	;; [unrolled: 1-line block ×8, first 2 shown]
	ds_write2_b32 v71, v4, v32 offset1:52
	v_pack_b32_f16 v4, v5, v34
	v_pack_b32_f16 v5, v37, v38
	;; [unrolled: 1-line block ×10, first 2 shown]
	ds_write2_b32 v72, v4, v5 offset1:52
	ds_write2_b32 v73, v8, v7 offset1:52
	;; [unrolled: 1-line block ×5, first 2 shown]
	s_waitcnt lgkmcnt(0)
	s_barrier
	buffer_gl0_inv
	ds_read2_b32 v[4:5], v50 offset1:78
	ds_read2_b32 v[6:7], v1 offset0:56 offset1:134
	ds_read2_b32 v[8:9], v2 offset0:112 offset1:190
	;; [unrolled: 1-line block ×5, first 2 shown]
	s_waitcnt lgkmcnt(0)
	s_barrier
	buffer_gl0_inv
	v_lshrrev_b32_e32 v33, 16, v4
	v_lshrrev_b32_e32 v34, 16, v6
	;; [unrolled: 1-line block ×4, first 2 shown]
	v_mul_f16_sdwa v61, v19, v6 dst_sel:DWORD dst_unused:UNUSED_PAD src0_sel:WORD_1 src1_sel:DWORD
	v_lshrrev_b32_e32 v38, 16, v9
	v_mul_f16_sdwa v57, v19, v34 dst_sel:DWORD dst_unused:UNUSED_PAD src0_sel:WORD_1 src1_sel:DWORD
	v_mul_f16_sdwa v63, v20, v35 dst_sel:DWORD dst_unused:UNUSED_PAD src0_sel:WORD_1 src1_sel:DWORD
	v_lshrrev_b32_e32 v40, 16, v29
	v_lshrrev_b32_e32 v55, 16, v31
	;; [unrolled: 1-line block ×3, first 2 shown]
	v_fmac_f16_e32 v57, v19, v6
	v_mul_f16_sdwa v6, v20, v8 dst_sel:DWORD dst_unused:UNUSED_PAD src0_sel:WORD_1 src1_sel:DWORD
	v_fma_f16 v19, v19, v34, -v61
	v_mul_f16_sdwa v34, v17, v37 dst_sel:DWORD dst_unused:UNUSED_PAD src0_sel:WORD_1 src1_sel:DWORD
	v_fmac_f16_e32 v63, v20, v8
	v_mul_f16_sdwa v8, v17, v7 dst_sel:DWORD dst_unused:UNUSED_PAD src0_sel:WORD_1 src1_sel:DWORD
	v_fma_f16 v6, v20, v35, -v6
	v_mul_f16_sdwa v20, v18, v38 dst_sel:DWORD dst_unused:UNUSED_PAD src0_sel:WORD_1 src1_sel:DWORD
	;; [unrolled: 4-line block ×4, first 2 shown]
	v_lshrrev_b32_e32 v62, 16, v32
	v_fmac_f16_e32 v17, v15, v29
	v_mul_f16_sdwa v29, v16, v31 dst_sel:DWORD dst_unused:UNUSED_PAD src0_sel:WORD_1 src1_sel:DWORD
	v_fma_f16 v9, v15, v40, -v9
	v_mul_f16_sdwa v15, v13, v60 dst_sel:DWORD dst_unused:UNUSED_PAD src0_sel:WORD_1 src1_sel:DWORD
	v_fmac_f16_e32 v18, v16, v31
	v_mul_f16_sdwa v31, v13, v30 dst_sel:DWORD dst_unused:UNUSED_PAD src0_sel:WORD_1 src1_sel:DWORD
	v_fma_f16 v16, v16, v55, -v29
	v_mul_f16_sdwa v29, v14, v62 dst_sel:DWORD dst_unused:UNUSED_PAD src0_sel:WORD_1 src1_sel:DWORD
	v_fmac_f16_e32 v15, v13, v30
	v_mul_f16_sdwa v30, v14, v32 dst_sel:DWORD dst_unused:UNUSED_PAD src0_sel:WORD_1 src1_sel:DWORD
	v_fma_f16 v13, v13, v60, -v31
	v_add_f16_e32 v31, v57, v63
	v_fmac_f16_e32 v29, v14, v32
	v_add_f16_e32 v32, v4, v57
	v_fma_f16 v14, v14, v62, -v30
	v_add_f16_e32 v30, v19, v6
	v_fma_f16 v4, -0.5, v31, v4
	v_sub_f16_e32 v31, v19, v6
	v_add_f16_e32 v19, v33, v19
	v_lshrrev_b32_e32 v36, 16, v5
	v_fmac_f16_e32 v33, -0.5, v30
	v_sub_f16_e32 v30, v57, v63
	v_fmamk_f16 v35, v31, 0xbaee, v4
	v_add_f16_e32 v6, v19, v6
	v_add_f16_e32 v19, v34, v20
	v_fmac_f16_e32 v4, 0x3aee, v31
	v_fmamk_f16 v31, v30, 0x3aee, v33
	v_add_f16_e32 v37, v5, v34
	v_fmac_f16_e32 v33, 0xbaee, v30
	v_add_f16_e32 v30, v8, v7
	v_fmac_f16_e32 v5, -0.5, v19
	v_sub_f16_e32 v19, v8, v7
	v_add_f16_e32 v8, v36, v8
	v_add_f16_e32 v37, v37, v20
	v_fmac_f16_e32 v36, -0.5, v30
	v_sub_f16_e32 v20, v34, v20
	v_lshrrev_b32_e32 v39, 16, v10
	v_add_f16_e32 v7, v8, v7
	v_add_f16_e32 v8, v17, v18
	v_fmamk_f16 v30, v19, 0xbaee, v5
	v_fmac_f16_e32 v5, 0x3aee, v19
	v_fmamk_f16 v19, v20, 0x3aee, v36
	v_fmac_f16_e32 v36, 0xbaee, v20
	v_add_f16_e32 v20, v9, v16
	v_add_f16_e32 v34, v10, v17
	v_fma_f16 v8, -0.5, v8, v10
	v_sub_f16_e32 v10, v9, v16
	v_add_f16_e32 v9, v39, v9
	v_fmac_f16_e32 v39, -0.5, v20
	v_sub_f16_e32 v17, v17, v18
	v_lshrrev_b32_e32 v56, 16, v11
	v_add_f16_e32 v34, v34, v18
	v_fmamk_f16 v18, v10, 0xbaee, v8
	v_fmac_f16_e32 v8, 0x3aee, v10
	v_add_f16_e32 v10, v15, v29
	v_add_f16_e32 v9, v9, v16
	v_fmamk_f16 v16, v17, 0x3aee, v39
	v_fmac_f16_e32 v39, 0xbaee, v17
	v_add_f16_e32 v17, v13, v14
	v_add_f16_e32 v32, v32, v63
	;; [unrolled: 1-line block ×3, first 2 shown]
	v_fmac_f16_e32 v11, -0.5, v10
	v_sub_f16_e32 v10, v13, v14
	v_add_f16_e32 v13, v56, v13
	v_fmac_f16_e32 v56, -0.5, v17
	v_sub_f16_e32 v15, v15, v29
	v_add_f16_e32 v17, v20, v29
	v_fmamk_f16 v20, v10, 0xbaee, v11
	v_fmac_f16_e32 v11, 0x3aee, v10
	v_add_f16_e32 v10, v13, v14
	v_pack_b32_f16 v6, v32, v6
	v_pack_b32_f16 v14, v35, v31
	;; [unrolled: 1-line block ×3, first 2 shown]
	v_fmamk_f16 v13, v15, 0x3aee, v56
	v_fmac_f16_e32 v56, 0xbaee, v15
	v_pack_b32_f16 v7, v37, v7
	v_pack_b32_f16 v15, v30, v19
	ds_write2_b32 v50, v6, v14 offset1:104
	ds_write_b32 v50, v4 offset:832
	ds_write2_b32 v79, v7, v15 offset1:104
	v_pack_b32_f16 v4, v5, v36
	v_pack_b32_f16 v5, v34, v9
	;; [unrolled: 1-line block ×6, first 2 shown]
	v_add_nc_u32_e32 v10, 0x800, v70
	v_pack_b32_f16 v11, v11, v56
	ds_write_b32 v79, v4 offset:832
	ds_write2_b32 v78, v5, v6 offset1:104
	ds_write_b32 v78, v7 offset:832
	ds_write2_b32 v10, v8, v9 offset0:112 offset1:216
	ds_write_b32 v70, v11 offset:3328
	s_waitcnt lgkmcnt(0)
	s_barrier
	buffer_gl0_inv
	ds_read2_b32 v[4:5], v50 offset1:78
	ds_read2_b32 v[6:7], v1 offset0:56 offset1:134
	ds_read2_b32 v[8:9], v2 offset0:112 offset1:190
	;; [unrolled: 1-line block ×5, first 2 shown]
	s_waitcnt lgkmcnt(5)
	v_lshrrev_b32_e32 v17, 16, v4
	s_waitcnt lgkmcnt(4)
	v_lshrrev_b32_e32 v18, 16, v6
	;; [unrolled: 2-line block ×3, first 2 shown]
	v_lshrrev_b32_e32 v29, 16, v7
	v_mul_f16_sdwa v37, v27, v6 dst_sel:DWORD dst_unused:UNUSED_PAD src0_sel:WORD_1 src1_sel:DWORD
	v_lshrrev_b32_e32 v30, 16, v9
	v_mul_f16_sdwa v35, v27, v18 dst_sel:DWORD dst_unused:UNUSED_PAD src0_sel:WORD_1 src1_sel:DWORD
	v_mul_f16_sdwa v39, v28, v19 dst_sel:DWORD dst_unused:UNUSED_PAD src0_sel:WORD_1 src1_sel:DWORD
	s_waitcnt lgkmcnt(1)
	v_lshrrev_b32_e32 v32, 16, v13
	v_fma_f16 v18, v27, v18, -v37
	s_waitcnt lgkmcnt(0)
	v_lshrrev_b32_e32 v33, 16, v15
	v_fmac_f16_e32 v35, v27, v6
	v_mul_f16_sdwa v6, v28, v8 dst_sel:DWORD dst_unused:UNUSED_PAD src0_sel:WORD_1 src1_sel:DWORD
	v_mul_f16_sdwa v27, v25, v29 dst_sel:DWORD dst_unused:UNUSED_PAD src0_sel:WORD_1 src1_sel:DWORD
	v_fmac_f16_e32 v39, v28, v8
	v_mul_f16_sdwa v8, v25, v7 dst_sel:DWORD dst_unused:UNUSED_PAD src0_sel:WORD_1 src1_sel:DWORD
	v_lshrrev_b32_e32 v36, 16, v14
	v_fma_f16 v6, v28, v19, -v6
	v_mul_f16_sdwa v19, v26, v30 dst_sel:DWORD dst_unused:UNUSED_PAD src0_sel:WORD_1 src1_sel:DWORD
	v_fmac_f16_e32 v27, v25, v7
	v_mul_f16_sdwa v7, v26, v9 dst_sel:DWORD dst_unused:UNUSED_PAD src0_sel:WORD_1 src1_sel:DWORD
	v_fma_f16 v8, v25, v29, -v8
	v_mul_f16_sdwa v25, v23, v32 dst_sel:DWORD dst_unused:UNUSED_PAD src0_sel:WORD_1 src1_sel:DWORD
	v_fmac_f16_e32 v19, v26, v9
	v_mul_f16_sdwa v9, v23, v13 dst_sel:DWORD dst_unused:UNUSED_PAD src0_sel:WORD_1 src1_sel:DWORD
	v_fma_f16 v7, v26, v30, -v7
	v_mul_f16_sdwa v26, v24, v33 dst_sel:DWORD dst_unused:UNUSED_PAD src0_sel:WORD_1 src1_sel:DWORD
	v_lshrrev_b32_e32 v38, 16, v16
	v_fmac_f16_e32 v25, v23, v13
	v_mul_f16_sdwa v13, v24, v15 dst_sel:DWORD dst_unused:UNUSED_PAD src0_sel:WORD_1 src1_sel:DWORD
	v_fma_f16 v9, v23, v32, -v9
	v_mul_f16_sdwa v23, v21, v36 dst_sel:DWORD dst_unused:UNUSED_PAD src0_sel:WORD_1 src1_sel:DWORD
	v_fmac_f16_e32 v26, v24, v15
	v_mul_f16_sdwa v15, v21, v14 dst_sel:DWORD dst_unused:UNUSED_PAD src0_sel:WORD_1 src1_sel:DWORD
	v_fma_f16 v13, v24, v33, -v13
	v_mul_f16_sdwa v24, v22, v38 dst_sel:DWORD dst_unused:UNUSED_PAD src0_sel:WORD_1 src1_sel:DWORD
	v_fmac_f16_e32 v23, v21, v14
	v_mul_f16_sdwa v14, v22, v16 dst_sel:DWORD dst_unused:UNUSED_PAD src0_sel:WORD_1 src1_sel:DWORD
	v_fma_f16 v15, v21, v36, -v15
	v_add_f16_e32 v21, v35, v39
	v_fmac_f16_e32 v24, v22, v16
	v_add_f16_e32 v16, v4, v35
	v_fma_f16 v14, v22, v38, -v14
	v_add_f16_e32 v22, v18, v6
	v_fma_f16 v4, -0.5, v21, v4
	v_sub_f16_e32 v21, v18, v6
	v_add_f16_e32 v18, v17, v18
	v_lshrrev_b32_e32 v20, 16, v5
	v_fmac_f16_e32 v17, -0.5, v22
	v_sub_f16_e32 v22, v35, v39
	v_fmamk_f16 v28, v21, 0xbaee, v4
	v_add_f16_e32 v6, v18, v6
	v_add_f16_e32 v18, v27, v19
	v_fmac_f16_e32 v4, 0x3aee, v21
	v_fmamk_f16 v21, v22, 0x3aee, v17
	v_add_f16_e32 v29, v5, v27
	v_fmac_f16_e32 v17, 0xbaee, v22
	v_add_f16_e32 v22, v8, v7
	v_fmac_f16_e32 v5, -0.5, v18
	v_sub_f16_e32 v18, v8, v7
	v_add_f16_e32 v8, v20, v8
	v_add_f16_e32 v29, v29, v19
	v_fmac_f16_e32 v20, -0.5, v22
	v_sub_f16_e32 v19, v27, v19
	v_lshrrev_b32_e32 v31, 16, v10
	v_add_f16_e32 v7, v8, v7
	v_add_f16_e32 v8, v25, v26
	v_fmamk_f16 v22, v18, 0xbaee, v5
	v_fmac_f16_e32 v5, 0x3aee, v18
	v_fmamk_f16 v18, v19, 0x3aee, v20
	v_fmac_f16_e32 v20, 0xbaee, v19
	v_add_f16_e32 v19, v9, v13
	v_add_f16_e32 v27, v10, v25
	v_fma_f16 v8, -0.5, v8, v10
	v_sub_f16_e32 v10, v9, v13
	v_add_f16_e32 v9, v31, v9
	v_fmac_f16_e32 v31, -0.5, v19
	v_sub_f16_e32 v19, v25, v26
	v_add_f16_e32 v16, v16, v39
	v_lshrrev_b32_e32 v34, 16, v11
	v_fmamk_f16 v25, v10, 0xbaee, v8
	v_fmac_f16_e32 v8, 0x3aee, v10
	v_add_f16_e32 v10, v23, v24
	v_add_f16_e32 v9, v9, v13
	v_fmamk_f16 v13, v19, 0x3aee, v31
	v_fmac_f16_e32 v31, 0xbaee, v19
	v_add_f16_e32 v19, v15, v14
	v_pack_b32_f16 v6, v16, v6
	v_add_f16_e32 v27, v27, v26
	v_add_f16_e32 v26, v11, v23
	v_fmac_f16_e32 v11, -0.5, v10
	v_sub_f16_e32 v10, v15, v14
	v_add_f16_e32 v15, v34, v15
	v_fmac_f16_e32 v34, -0.5, v19
	v_sub_f16_e32 v19, v23, v24
	ds_write_b32 v50, v6
	v_pack_b32_f16 v6, v28, v21
	v_pack_b32_f16 v4, v4, v17
	v_add_f16_e32 v26, v26, v24
	v_fmamk_f16 v23, v10, 0xbaee, v11
	v_fmac_f16_e32 v11, 0x3aee, v10
	v_add_f16_e32 v10, v15, v14
	v_pack_b32_f16 v7, v29, v7
	v_fmamk_f16 v14, v19, 0x3aee, v34
	v_pack_b32_f16 v15, v22, v18
	v_fmac_f16_e32 v34, 0xbaee, v19
	v_pack_b32_f16 v5, v5, v20
	ds_write_b32 v50, v6 offset:1248
	ds_write_b32 v81, v4 offset:2496
	;; [unrolled: 1-line block ×5, first 2 shown]
	v_pack_b32_f16 v5, v25, v13
	v_pack_b32_f16 v6, v8, v31
	;; [unrolled: 1-line block ×6, first 2 shown]
	ds_write_b32 v59, v5 offset:1248
	ds_write_b32 v59, v6 offset:2496
	ds_write2_b32 v50, v4, v7 offset0:156 offset1:234
	ds_write_b32 v58, v8 offset:1248
	ds_write_b32 v58, v9 offset:2496
	s_waitcnt lgkmcnt(0)
	s_barrier
	buffer_gl0_inv
	ds_read2_b32 v[4:5], v50 offset1:78
	s_waitcnt lgkmcnt(0)
	v_lshrrev_b32_e32 v8, 16, v4
	v_mul_f16_sdwa v6, v54, v8 dst_sel:DWORD dst_unused:UNUSED_PAD src0_sel:WORD_1 src1_sel:DWORD
	v_fmac_f16_e32 v6, v54, v4
	v_mul_f16_sdwa v4, v54, v4 dst_sel:DWORD dst_unused:UNUSED_PAD src0_sel:WORD_1 src1_sel:DWORD
	v_cvt_f32_f16_e32 v6, v6
	v_fma_f16 v4, v54, v8, -v4
	v_cvt_f64_f32_e32 v[6:7], v6
	v_cvt_f32_f16_e32 v4, v4
	v_cvt_f64_f32_e32 v[8:9], v4
	ds_read2_b32 v[3:4], v3 offset0:84 offset1:162
	v_mul_f64 v[6:7], v[6:7], s[4:5]
	s_waitcnt lgkmcnt(0)
	v_lshrrev_b32_e32 v16, 16, v3
	v_mul_f64 v[8:9], v[8:9], s[4:5]
	v_mul_f16_sdwa v17, v53, v16 dst_sel:DWORD dst_unused:UNUSED_PAD src0_sel:WORD_1 src1_sel:DWORD
	v_fmac_f16_e32 v17, v53, v3
	v_mul_f16_sdwa v3, v53, v3 dst_sel:DWORD dst_unused:UNUSED_PAD src0_sel:WORD_1 src1_sel:DWORD
	v_fma_f16 v3, v53, v16, -v3
	v_and_or_b32 v6, 0x1ff, v7, v6
	v_lshrrev_b32_e32 v10, 8, v7
	v_bfe_u32 v11, v7, 20, 11
	v_cvt_f32_f16_e32 v3, v3
	v_cmp_ne_u32_e32 vcc_lo, 0, v6
	v_and_or_b32 v8, 0x1ff, v9, v8
	v_lshrrev_b32_e32 v14, 8, v9
	v_bfe_u32 v18, v9, 20, 11
	v_add_nc_u32_e32 v19, 0xfffffc10, v11
	v_cndmask_b32_e64 v6, 0, 1, vcc_lo
	v_cmp_ne_u32_e32 vcc_lo, 0, v8
	v_lshrrev_b32_e32 v9, 16, v9
	v_cmp_eq_u32_e64 s1, 0x40f, v19
	v_and_or_b32 v15, 0xffe, v10, v6
	v_sub_nc_u32_e32 v6, 0x3f1, v11
	v_cndmask_b32_e64 v8, 0, 1, vcc_lo
	v_or_b32_e32 v10, 0x1000, v15
	v_med3_i32 v6, v6, 0, 13
	v_and_or_b32 v8, 0xffe, v14, v8
	v_sub_nc_u32_e32 v14, 0x3f1, v18
	v_lshl_or_b32 v21, v19, 12, v15
	v_add_nc_u32_e32 v18, 0xfffffc10, v18
	v_lshrrev_b32_e32 v13, v6, v10
	v_med3_i32 v20, v14, 0, 13
	v_lshlrev_b32_e32 v6, v6, v13
	v_cmp_ne_u32_e32 vcc_lo, v6, v10
	v_cvt_f32_f16_e32 v10, v17
	v_or_b32_e32 v17, 0x1000, v8
	v_cndmask_b32_e64 v6, 0, 1, vcc_lo
	v_cmp_gt_i32_e32 vcc_lo, 1, v19
	v_lshrrev_b32_e32 v22, v20, v17
	v_cvt_f64_f32_e32 v[10:11], v10
	v_or_b32_e32 v6, v13, v6
	v_mad_u64_u32 v[13:14], null, s10, v12, 0
	v_lshlrev_b32_e32 v20, v20, v22
	v_cndmask_b32_e32 v21, v21, v6, vcc_lo
	v_cmp_ne_u32_e32 vcc_lo, v20, v17
	v_mov_b32_e32 v6, v14
	v_and_b32_e32 v23, 7, v21
	v_lshrrev_b32_e32 v17, 2, v21
	v_lshl_or_b32 v20, v18, 12, v8
	v_cndmask_b32_e64 v14, 0, 1, vcc_lo
	v_cmp_lt_i32_e32 vcc_lo, 5, v23
	v_cmp_eq_u32_e64 s0, 3, v23
	v_or_b32_e32 v14, v22, v14
	v_mul_f64 v[10:11], v[10:11], s[4:5]
	s_or_b32 vcc_lo, s0, vcc_lo
	v_add_co_ci_u32_e32 v17, vcc_lo, 0, v17, vcc_lo
	v_cmp_gt_i32_e32 vcc_lo, 1, v18
	v_cndmask_b32_e32 v20, v20, v14, vcc_lo
	v_cmp_ne_u32_e32 vcc_lo, 0, v15
	v_and_b32_e32 v22, 7, v20
	v_cndmask_b32_e64 v14, 0, 1, vcc_lo
	v_cmp_gt_i32_e32 vcc_lo, 31, v19
	v_cmp_eq_u32_e64 s0, 3, v22
	v_lshl_or_b32 v23, v14, 9, 0x7c00
	v_cndmask_b32_e32 v21, 0x7c00, v17, vcc_lo
	v_cmp_lt_i32_e32 vcc_lo, 5, v22
	v_mad_u64_u32 v[16:17], null, s11, v12, v[6:7]
	v_lshrrev_b32_e32 v6, 2, v20
	v_cvt_f64_f32_e32 v[14:15], v3
	s_or_b32 vcc_lo, s0, vcc_lo
	v_lshrrev_b32_e32 v12, 16, v7
	v_and_or_b32 v7, 0x1ff, v11, v10
	v_add_co_ci_u32_e32 v6, vcc_lo, 0, v6, vcc_lo
	v_cmp_ne_u32_e32 vcc_lo, 0, v8
	v_lshrrev_b32_e32 v10, 8, v11
	v_bfe_u32 v19, v11, 20, 11
	v_cndmask_b32_e64 v3, v21, v23, s1
	v_lshrrev_b32_e32 v22, 16, v5
	v_cndmask_b32_e64 v8, 0, 1, vcc_lo
	v_cmp_ne_u32_e32 vcc_lo, 0, v7
	v_and_or_b32 v12, 0x8000, v12, v3
	v_lshl_or_b32 v8, v8, 9, 0x7c00
	v_cndmask_b32_e64 v7, 0, 1, vcc_lo
	v_cmp_gt_i32_e32 vcc_lo, 31, v18
	v_and_or_b32 v20, 0xffe, v10, v7
	v_cndmask_b32_e32 v17, 0x7c00, v6, vcc_lo
	v_cmp_eq_u32_e32 vcc_lo, 0x40f, v18
	v_mul_f64 v[6:7], v[14:15], s[4:5]
	v_sub_nc_u32_e32 v10, 0x3f1, v19
	v_or_b32_e32 v15, 0x1000, v20
	v_mov_b32_e32 v14, v16
	v_cndmask_b32_e32 v8, v17, v8, vcc_lo
	v_mad_u64_u32 v[17:18], null, s8, v51, 0
	v_med3_i32 v10, v10, 0, 13
	v_and_or_b32 v21, 0x8000, v9, v8
	v_lshrrev_b32_e32 v16, v10, v15
	v_mov_b32_e32 v3, v18
	v_lshlrev_b32_e32 v10, v10, v16
	v_mad_u64_u32 v[8:9], null, s9, v51, v[3:4]
	v_mul_f16_sdwa v9, v52, v22 dst_sel:DWORD dst_unused:UNUSED_PAD src0_sel:WORD_1 src1_sel:DWORD
	v_and_b32_e32 v3, 0xffff, v12
	v_and_or_b32 v6, 0x1ff, v7, v6
	v_cmp_ne_u32_e32 vcc_lo, v10, v15
	v_add_nc_u32_e32 v15, 0xfffffc10, v19
	v_fmac_f16_e32 v9, v52, v5
	v_lshrrev_b32_e32 v12, 8, v7
	v_bfe_u32 v19, v7, 20, 11
	v_cndmask_b32_e64 v10, 0, 1, vcc_lo
	v_cmp_ne_u32_e32 vcc_lo, 0, v6
	v_cvt_f32_f16_e32 v9, v9
	v_lshl_or_b32 v18, v15, 12, v20
	v_mul_f16_sdwa v5, v52, v5 dst_sel:DWORD dst_unused:UNUSED_PAD src0_sel:WORD_1 src1_sel:DWORD
	v_or_b32_e32 v16, v16, v10
	v_cndmask_b32_e64 v6, 0, 1, vcc_lo
	v_cvt_f64_f32_e32 v[9:10], v9
	v_cmp_gt_i32_e32 vcc_lo, 1, v15
	v_lshl_or_b32 v3, v21, 16, v3
	v_and_or_b32 v23, 0xffe, v12, v6
	v_sub_nc_u32_e32 v6, 0x3f1, v19
	v_cndmask_b32_e32 v16, v18, v16, vcc_lo
	v_lshlrev_b64 v[12:13], 2, v[13:14]
	v_mov_b32_e32 v18, v8
	v_or_b32_e32 v24, 0x1000, v23
	v_med3_i32 v6, v6, 0, 13
	v_and_b32_e32 v8, 7, v16
	v_add_co_u32 v21, vcc_lo, s2, v12
	v_lshrrev_b32_e32 v14, v6, v24
	v_fma_f16 v12, v52, v22, -v5
	v_add_co_ci_u32_e32 v25, vcc_lo, s3, v13, vcc_lo
	v_cmp_lt_i32_e32 vcc_lo, 5, v8
	v_lshlrev_b32_e32 v13, v6, v14
	v_cmp_eq_u32_e64 s0, 3, v8
	v_mul_f64 v[8:9], v[9:10], s[4:5]
	v_cvt_f32_f16_e32 v12, v12
	v_lshrrev_b32_e32 v10, 2, v16
	v_cmp_ne_u32_e64 s1, v13, v24
	s_or_b32 vcc_lo, s0, vcc_lo
	v_lshlrev_b64 v[5:6], 2, v[17:18]
	v_cvt_f64_f32_e32 v[12:13], v12
	v_add_co_ci_u32_e32 v10, vcc_lo, 0, v10, vcc_lo
	v_cndmask_b32_e64 v17, 0, 1, s1
	v_add_nc_u32_e32 v18, 0xfffffc10, v19
	v_cmp_ne_u32_e32 vcc_lo, 0, v20
	v_add_co_u32 v5, s1, v21, v5
	v_or_b32_e32 v14, v14, v17
	v_lshl_or_b32 v16, v18, 12, v23
	v_cndmask_b32_e64 v17, 0, 1, vcc_lo
	v_cmp_gt_i32_e32 vcc_lo, 1, v18
	v_add_co_ci_u32_e64 v6, s1, v25, v6, s1
	s_mul_hi_u32 s2, s8, 0x750
	s_mul_i32 s3, s8, 0x750
	v_cndmask_b32_e32 v14, v16, v14, vcc_lo
	v_cmp_gt_i32_e32 vcc_lo, 31, v15
	v_and_or_b32 v8, 0x1ff, v9, v8
	v_lshl_or_b32 v16, v17, 9, 0x7c00
	global_store_dword v[5:6], v3, off
	v_and_b32_e32 v3, 7, v14
	v_cndmask_b32_e32 v10, 0x7c00, v10, vcc_lo
	v_cmp_eq_u32_e32 vcc_lo, 0x40f, v15
	v_cmp_ne_u32_e64 s0, 0, v8
	v_lshrrev_b32_e32 v14, 2, v14
	v_lshrrev_b32_e32 v17, 16, v4
	v_cndmask_b32_e32 v15, v10, v16, vcc_lo
	v_lshrrev_b32_e32 v16, 16, v11
	v_mul_f64 v[10:11], v[12:13], s[4:5]
	v_cmp_lt_i32_e32 vcc_lo, 5, v3
	v_cndmask_b32_e64 v8, 0, 1, s0
	v_cmp_eq_u32_e64 s0, 3, v3
	v_lshrrev_b32_e32 v12, 8, v9
	v_bfe_u32 v13, v9, 20, 11
	v_and_or_b32 v3, 0x8000, v16, v15
	v_mul_f16_sdwa v20, v49, v17 dst_sel:DWORD dst_unused:UNUSED_PAD src0_sel:WORD_1 src1_sel:DWORD
	s_or_b32 vcc_lo, s0, vcc_lo
	v_and_or_b32 v12, 0xffe, v12, v8
	v_add_co_ci_u32_e32 v14, vcc_lo, 0, v14, vcc_lo
	v_sub_nc_u32_e32 v8, 0x3f1, v13
	v_cmp_ne_u32_e32 vcc_lo, 0, v23
	v_or_b32_e32 v16, 0x1000, v12
	v_fmac_f16_e32 v20, v49, v4
	v_add_nc_u32_e32 v21, 0xfffffc10, v13
	v_med3_i32 v8, v8, 0, 13
	v_cndmask_b32_e64 v15, 0, 1, vcc_lo
	v_cmp_gt_i32_e32 vcc_lo, 31, v18
	v_and_b32_e32 v3, 0xffff, v3
	s_mul_i32 s0, s9, 0x750
	v_lshrrev_b32_e32 v19, v8, v16
	v_lshl_or_b32 v15, v15, 9, 0x7c00
	v_cndmask_b32_e32 v14, 0x7c00, v14, vcc_lo
	v_and_or_b32 v10, 0x1ff, v11, v10
	v_cmp_eq_u32_e32 vcc_lo, 0x40f, v18
	v_lshrrev_b32_e32 v18, 8, v11
	s_add_i32 s2, s2, s0
	v_mul_f16_sdwa v4, v49, v4 dst_sel:DWORD dst_unused:UNUSED_PAD src0_sel:WORD_1 src1_sel:DWORD
	v_lshrrev_b32_e32 v23, 16, v9
	v_cndmask_b32_e32 v14, v14, v15, vcc_lo
	v_lshrrev_b32_e32 v15, 16, v7
	v_lshlrev_b32_e32 v7, v8, v19
	v_cmp_ne_u32_e32 vcc_lo, 0, v10
	v_cvt_f32_f16_e32 v8, v20
	v_bfe_u32 v20, v11, 20, 11
	v_and_or_b32 v14, 0x8000, v15, v14
	v_fma_f16 v17, v49, v17, -v4
	v_cndmask_b32_e64 v10, 0, 1, vcc_lo
	v_cmp_ne_u32_e32 vcc_lo, v7, v16
	v_sub_nc_u32_e32 v13, 0x3f1, v20
	v_cvt_f64_f32_e32 v[7:8], v8
	v_lshl_or_b32 v22, v14, 16, v3
	v_and_or_b32 v10, 0xffe, v18, v10
	v_cndmask_b32_e64 v16, 0, 1, vcc_lo
	v_lshl_or_b32 v18, v21, 12, v12
	v_cmp_gt_i32_e32 vcc_lo, 1, v21
	v_med3_i32 v13, v13, 0, 13
	v_or_b32_e32 v15, 0x1000, v10
	v_or_b32_e32 v16, v19, v16
	v_add_nc_u32_e32 v14, 0xfffffc10, v20
	v_lshrrev_b32_e32 v11, 16, v11
	v_cndmask_b32_e32 v16, v18, v16, vcc_lo
	v_lshrrev_b32_e32 v18, v13, v15
	v_and_b32_e32 v19, 7, v16
	v_lshlrev_b32_e32 v3, v13, v18
	v_lshrrev_b32_e32 v13, 2, v16
	v_lshl_or_b32 v16, v14, 12, v10
	v_mul_f64 v[7:8], v[7:8], s[4:5]
	v_cmp_lt_i32_e32 vcc_lo, 5, v19
	v_cmp_eq_u32_e64 s0, 3, v19
	v_cmp_ne_u32_e64 s1, v3, v15
	s_or_b32 vcc_lo, s0, vcc_lo
	v_cndmask_b32_e64 v3, 0, 1, s1
	v_add_co_ci_u32_e32 v13, vcc_lo, 0, v13, vcc_lo
	v_cmp_ne_u32_e32 vcc_lo, 0, v12
	v_or_b32_e32 v15, v18, v3
	ds_read2_b32 v[3:4], v50 offset0:156 offset1:234
	v_cndmask_b32_e64 v12, 0, 1, vcc_lo
	v_cmp_gt_i32_e32 vcc_lo, 1, v14
	v_lshl_or_b32 v18, v12, 9, 0x7c00
	v_cndmask_b32_e32 v15, v16, v15, vcc_lo
	v_cvt_f32_f16_e32 v16, v17
	v_cmp_gt_i32_e32 vcc_lo, 31, v21
	v_and_or_b32 v7, 0x1ff, v8, v7
	v_and_b32_e32 v19, 7, v15
	v_lshrrev_b32_e32 v15, 2, v15
	v_cndmask_b32_e32 v17, 0x7c00, v13, vcc_lo
	v_cvt_f64_f32_e32 v[12:13], v16
	v_cmp_eq_u32_e32 vcc_lo, 0x40f, v21
	v_cmp_ne_u32_e64 s1, 0, v7
	v_cmp_eq_u32_e64 s0, 3, v19
	v_cndmask_b32_e32 v16, v17, v18, vcc_lo
	v_cmp_lt_i32_e32 vcc_lo, 5, v19
	v_cndmask_b32_e64 v7, 0, 1, s1
	v_lshrrev_b32_e32 v17, 8, v8
	v_bfe_u32 v18, v8, 20, 11
	s_waitcnt lgkmcnt(0)
	v_lshrrev_b32_e32 v19, 16, v3
	s_or_b32 vcc_lo, s0, vcc_lo
	v_and_or_b32 v16, 0x8000, v23, v16
	v_add_co_ci_u32_e32 v15, vcc_lo, 0, v15, vcc_lo
	v_and_or_b32 v7, 0xffe, v17, v7
	v_sub_nc_u32_e32 v17, 0x3f1, v18
	v_cmp_ne_u32_e32 vcc_lo, 0, v10
	v_mul_f16_sdwa v20, v48, v19 dst_sel:DWORD dst_unused:UNUSED_PAD src0_sel:WORD_1 src1_sel:DWORD
	v_and_b32_e32 v16, 0xffff, v16
	v_or_b32_e32 v21, 0x1000, v7
	v_mul_f64 v[12:13], v[12:13], s[4:5]
	v_cndmask_b32_e64 v10, 0, 1, vcc_lo
	v_med3_i32 v17, v17, 0, 13
	v_cmp_gt_i32_e32 vcc_lo, 31, v14
	v_fmac_f16_e32 v20, v48, v3
	v_mul_f16_sdwa v3, v48, v3 dst_sel:DWORD dst_unused:UNUSED_PAD src0_sel:WORD_1 src1_sel:DWORD
	v_lshl_or_b32 v10, v10, 9, 0x7c00
	v_lshrrev_b32_e32 v24, v17, v21
	v_cndmask_b32_e32 v15, 0x7c00, v15, vcc_lo
	v_cmp_eq_u32_e32 vcc_lo, 0x40f, v14
	v_cvt_f32_f16_e32 v9, v20
	s_mul_hi_u32 s1, s8, 0xfffff9e8
	s_mul_i32 s0, s9, 0xfffff9e8
	s_sub_i32 s6, s1, s8
	v_cndmask_b32_e32 v14, v15, v10, vcc_lo
	v_lshlrev_b32_e32 v15, v17, v24
	v_cvt_f64_f32_e32 v[9:10], v9
	v_add_co_u32 v5, vcc_lo, v5, s3
	v_add_co_ci_u32_e32 v6, vcc_lo, s2, v6, vcc_lo
	v_cmp_ne_u32_e32 vcc_lo, v15, v21
	v_and_or_b32 v12, 0x1ff, v13, v12
	v_and_or_b32 v11, 0x8000, v11, v14
	v_add_nc_u32_e32 v15, 0xfffffc10, v18
	v_lshrrev_b32_e32 v18, 8, v13
	v_cndmask_b32_e64 v14, 0, 1, vcc_lo
	v_cmp_ne_u32_e32 vcc_lo, 0, v12
	v_bfe_u32 v20, v13, 20, 11
	v_lshl_or_b32 v17, v15, 12, v7
	v_lshl_or_b32 v23, v11, 16, v16
	v_or_b32_e32 v14, v24, v14
	v_cndmask_b32_e64 v12, 0, 1, vcc_lo
	v_cmp_gt_i32_e32 vcc_lo, 1, v15
	v_fma_f16 v3, v48, v19, -v3
	s_add_i32 s6, s6, s0
	v_add_nc_u32_e32 v19, 0xfffffc10, v20
	v_lshrrev_b32_e32 v13, 16, v13
	v_cndmask_b32_e32 v14, v17, v14, vcc_lo
	v_and_or_b32 v17, 0xffe, v18, v12
	v_sub_nc_u32_e32 v12, 0x3f1, v20
	v_mul_f64 v[9:10], v[9:10], s[4:5]
	v_cvt_f32_f16_e32 v3, v3
	v_and_b32_e32 v18, 7, v14
	v_or_b32_e32 v21, 0x1000, v17
	v_med3_i32 v12, v12, 0, 13
	v_lshrrev_b32_e32 v11, 2, v14
	global_store_dword v[5:6], v22, off
	v_cmp_lt_i32_e32 vcc_lo, 5, v18
	v_cmp_eq_u32_e64 s0, 3, v18
	v_lshrrev_b32_e32 v16, v12, v21
	s_or_b32 vcc_lo, s0, vcc_lo
	v_lshlrev_b32_e32 v14, v12, v16
	v_add_co_ci_u32_e32 v18, vcc_lo, 0, v11, vcc_lo
	v_cvt_f64_f32_e32 v[11:12], v3
	v_cmp_ne_u32_e32 vcc_lo, v14, v21
	v_lshl_or_b32 v14, v19, 12, v17
	v_and_or_b32 v9, 0x1ff, v10, v9
	v_bfe_u32 v20, v10, 20, 11
	v_cndmask_b32_e64 v3, 0, 1, vcc_lo
	v_cmp_ne_u32_e32 vcc_lo, 0, v7
	v_or_b32_e32 v3, v16, v3
	v_cndmask_b32_e64 v7, 0, 1, vcc_lo
	v_cmp_ne_u32_e32 vcc_lo, 0, v9
	v_lshrrev_b32_e32 v16, 8, v10
	v_lshrrev_b32_e32 v10, 16, v10
	v_lshl_or_b32 v7, v7, 9, 0x7c00
	v_cndmask_b32_e64 v9, 0, 1, vcc_lo
	v_cmp_gt_i32_e32 vcc_lo, 1, v19
	v_mul_f64 v[11:12], v[11:12], s[4:5]
	v_and_or_b32 v9, 0xffe, v16, v9
	v_cndmask_b32_e32 v14, v14, v3, vcc_lo
	v_cmp_gt_i32_e32 vcc_lo, 31, v15
	v_sub_nc_u32_e32 v16, 0x3f1, v20
	ds_read2_b32 v[2:3], v2 offset0:112 offset1:190
	v_or_b32_e32 v24, 0x1000, v9
	v_and_b32_e32 v21, 7, v14
	v_cndmask_b32_e32 v18, 0x7c00, v18, vcc_lo
	v_med3_i32 v16, v16, 0, 13
	v_cmp_eq_u32_e32 vcc_lo, 0x40f, v15
	v_lshrrev_b32_e32 v14, 2, v14
	v_cmp_eq_u32_e64 s0, 3, v21
	v_add_nc_u32_e32 v20, 0xfffffc10, v20
	v_cndmask_b32_e32 v15, v18, v7, vcc_lo
	v_lshrrev_b32_e32 v18, 16, v8
	v_cmp_lt_i32_e32 vcc_lo, 5, v21
	v_lshrrev_b32_e32 v21, v16, v24
	v_add_co_u32 v7, s1, v5, s7
	v_and_or_b32 v18, 0x8000, v18, v15
	s_or_b32 vcc_lo, s0, vcc_lo
	v_lshlrev_b32_e32 v15, v16, v21
	v_add_co_ci_u32_e32 v16, vcc_lo, 0, v14, vcc_lo
	v_and_or_b32 v11, 0x1ff, v12, v11
	s_waitcnt lgkmcnt(0)
	v_lshrrev_b32_e32 v25, 16, v2
	v_cmp_ne_u32_e32 vcc_lo, v15, v24
	v_lshrrev_b32_e32 v24, 8, v12
	v_bfe_u32 v26, v12, 20, 11
	v_add_co_ci_u32_e64 v8, s1, s6, v6, s1
	v_cndmask_b32_e64 v14, 0, 1, vcc_lo
	v_cmp_ne_u32_e32 vcc_lo, 0, v17
	v_mul_f16_sdwa v15, v47, v25 dst_sel:DWORD dst_unused:UNUSED_PAD src0_sel:WORD_1 src1_sel:DWORD
	v_and_b32_e32 v18, 0xffff, v18
	v_lshrrev_b32_e32 v12, 16, v12
	v_or_b32_e32 v14, v21, v14
	v_cndmask_b32_e64 v17, 0, 1, vcc_lo
	v_cmp_ne_u32_e32 vcc_lo, 0, v11
	v_lshl_or_b32 v21, v20, 12, v9
	v_fmac_f16_e32 v15, v47, v2
	v_mul_f16_sdwa v2, v47, v2 dst_sel:DWORD dst_unused:UNUSED_PAD src0_sel:WORD_1 src1_sel:DWORD
	v_lshl_or_b32 v17, v17, 9, 0x7c00
	v_cndmask_b32_e64 v11, 0, 1, vcc_lo
	v_cmp_gt_i32_e32 vcc_lo, 1, v20
	v_cvt_f32_f16_e32 v15, v15
	v_fma_f16 v2, v47, v25, -v2
	v_add_nc_u32_e32 v25, 0xfffffc10, v26
	v_and_or_b32 v11, 0xffe, v24, v11
	v_cndmask_b32_e32 v21, v21, v14, vcc_lo
	v_cmp_gt_i32_e32 vcc_lo, 31, v19
	v_sub_nc_u32_e32 v24, 0x3f1, v26
	v_cvt_f64_f32_e32 v[14:15], v15
	v_or_b32_e32 v28, 0x1000, v11
	v_and_b32_e32 v27, 7, v21
	v_cndmask_b32_e32 v16, 0x7c00, v16, vcc_lo
	v_cmp_eq_u32_e32 vcc_lo, 0x40f, v19
	v_med3_i32 v24, v24, 0, 13
	v_cvt_f32_f16_e32 v2, v2
	v_cmp_eq_u32_e64 s0, 3, v27
	global_store_dword v[7:8], v23, off
	v_cndmask_b32_e32 v16, v16, v17, vcc_lo
	v_lshrrev_b32_e32 v17, v24, v28
	v_cmp_lt_i32_e32 vcc_lo, 5, v27
	v_mul_f16_sdwa v23, v46, v4 dst_sel:DWORD dst_unused:UNUSED_PAD src0_sel:WORD_1 src1_sel:DWORD
	v_and_or_b32 v19, 0x8000, v13, v16
	v_lshrrev_b32_e32 v13, 2, v21
	v_lshlrev_b32_e32 v16, v24, v17
	s_or_b32 vcc_lo, s0, vcc_lo
	v_add_co_ci_u32_e32 v21, vcc_lo, 0, v13, vcc_lo
	v_cmp_ne_u32_e32 vcc_lo, v16, v28
	v_mul_f64 v[13:14], v[14:15], s[4:5]
	v_cvt_f64_f32_e32 v[15:16], v2
	v_cndmask_b32_e64 v24, 0, 1, vcc_lo
	v_cmp_ne_u32_e32 vcc_lo, 0, v9
	v_or_b32_e32 v9, v17, v24
	v_cndmask_b32_e64 v2, 0, 1, vcc_lo
	v_cmp_gt_i32_e32 vcc_lo, 31, v20
	v_lshl_or_b32 v17, v25, 12, v11
	v_lshl_or_b32 v2, v2, 9, 0x7c00
	v_cndmask_b32_e32 v21, 0x7c00, v21, vcc_lo
	v_cmp_gt_i32_e32 vcc_lo, 1, v25
	v_cndmask_b32_e32 v9, v17, v9, vcc_lo
	v_cmp_eq_u32_e32 vcc_lo, 0x40f, v20
	v_lshl_or_b32 v17, v19, 16, v18
	v_and_b32_e32 v5, 7, v9
	v_cndmask_b32_e32 v2, v21, v2, vcc_lo
	v_lshrrev_b32_e32 v9, 2, v9
	v_cmp_lt_i32_e32 vcc_lo, 5, v5
	v_and_or_b32 v2, 0x8000, v10, v2
	v_and_or_b32 v10, 0x1ff, v14, v13
	v_cmp_eq_u32_e64 s0, 3, v5
	v_mul_f64 v[5:6], v[15:16], s[4:5]
	v_lshrrev_b32_e32 v13, 8, v14
	v_bfe_u32 v15, v14, 20, 11
	v_cmp_ne_u32_e64 s1, 0, v10
	s_or_b32 vcc_lo, s0, vcc_lo
	v_lshrrev_b32_e32 v16, 16, v4
	v_add_co_ci_u32_e32 v9, vcc_lo, 0, v9, vcc_lo
	v_cndmask_b32_e64 v10, 0, 1, s1
	v_cmp_ne_u32_e32 vcc_lo, 0, v11
	v_mul_f16_sdwa v19, v46, v16 dst_sel:DWORD dst_unused:UNUSED_PAD src0_sel:WORD_1 src1_sel:DWORD
	v_and_b32_e32 v2, 0xffff, v2
	v_fma_f16 v16, v46, v16, -v23
	v_and_or_b32 v13, 0xffe, v13, v10
	v_sub_nc_u32_e32 v10, 0x3f1, v15
	v_cndmask_b32_e64 v11, 0, 1, vcc_lo
	v_cmp_gt_i32_e32 vcc_lo, 31, v25
	v_fmac_f16_e32 v19, v46, v4
	v_or_b32_e32 v18, 0x1000, v13
	v_med3_i32 v10, v10, 0, 13
	v_lshl_or_b32 v11, v11, 9, 0x7c00
	v_cndmask_b32_e32 v9, 0x7c00, v9, vcc_lo
	v_and_or_b32 v5, 0x1ff, v6, v5
	v_cmp_eq_u32_e32 vcc_lo, 0x40f, v25
	v_lshrrev_b32_e32 v20, v10, v18
	v_bfe_u32 v22, v6, 20, 11
	v_add_nc_u32_e32 v15, 0xfffffc10, v15
	v_cvt_f32_f16_e32 v16, v16
	v_cndmask_b32_e32 v11, v9, v11, vcc_lo
	v_lshlrev_b32_e32 v21, v10, v20
	v_cmp_ne_u32_e32 vcc_lo, 0, v5
	v_cvt_f32_f16_e32 v9, v19
	v_lshrrev_b32_e32 v19, 8, v6
	v_and_or_b32 v11, 0x8000, v12, v11
	v_lshrrev_b32_e32 v14, 16, v14
	v_cndmask_b32_e64 v5, 0, 1, vcc_lo
	v_cmp_ne_u32_e32 vcc_lo, v21, v18
	v_cvt_f64_f32_e32 v[9:10], v9
	v_lshl_or_b32 v2, v11, 16, v2
	v_lshrrev_b32_e32 v6, 16, v6
	v_and_or_b32 v19, 0xffe, v19, v5
	v_cndmask_b32_e64 v18, 0, 1, vcc_lo
	v_sub_nc_u32_e32 v5, 0x3f1, v22
	v_cmp_gt_i32_e32 vcc_lo, 1, v15
	v_or_b32_e32 v21, 0x1000, v19
	v_or_b32_e32 v18, v20, v18
	v_lshl_or_b32 v20, v15, 12, v13
	v_med3_i32 v5, v5, 0, 13
	v_cndmask_b32_e32 v12, v20, v18, vcc_lo
	v_lshrrev_b32_e32 v18, v5, v21
	v_add_co_u32 v7, vcc_lo, v7, s3
	v_add_co_ci_u32_e32 v8, vcc_lo, s2, v8, vcc_lo
	v_lshlrev_b32_e32 v20, v5, v18
	v_and_b32_e32 v11, 7, v12
	v_mul_f64 v[9:10], v[9:10], s[4:5]
	v_add_co_u32 v4, vcc_lo, v7, s7
	v_cmp_ne_u32_e64 s0, v20, v21
	v_add_co_ci_u32_e32 v5, vcc_lo, s6, v8, vcc_lo
	v_cmp_lt_i32_e32 vcc_lo, 5, v11
	v_add_nc_u32_e32 v21, 0xfffffc10, v22
	v_cndmask_b32_e64 v20, 0, 1, s0
	v_cmp_eq_u32_e64 s0, 3, v11
	v_lshrrev_b32_e32 v22, 2, v12
	v_cvt_f64_f32_e32 v[11:12], v16
	global_store_dword v[7:8], v17, off
	global_store_dword v[4:5], v2, off
	v_or_b32_e32 v18, v18, v20
	s_or_b32 vcc_lo, s0, vcc_lo
	v_lshl_or_b32 v20, v21, 12, v19
	v_add_co_ci_u32_e32 v16, vcc_lo, 0, v22, vcc_lo
	v_cmp_ne_u32_e32 vcc_lo, 0, v13
	v_and_or_b32 v9, 0x1ff, v10, v9
	v_cndmask_b32_e64 v13, 0, 1, vcc_lo
	v_cmp_gt_i32_e32 vcc_lo, 1, v21
	v_lshrrev_b32_e32 v22, 8, v10
	v_bfe_u32 v23, v10, 20, 11
	v_lshrrev_b32_e32 v10, 16, v10
	v_lshl_or_b32 v13, v13, 9, 0x7c00
	v_cndmask_b32_e32 v18, v20, v18, vcc_lo
	v_cmp_gt_i32_e32 vcc_lo, 31, v15
	v_mul_f64 v[11:12], v[11:12], s[4:5]
	v_and_b32_e32 v20, 7, v18
	v_cndmask_b32_e32 v16, 0x7c00, v16, vcc_lo
	v_cmp_ne_u32_e32 vcc_lo, 0, v9
	v_lshrrev_b32_e32 v18, 2, v18
	v_cmp_eq_u32_e64 s0, 3, v20
	v_cndmask_b32_e64 v9, 0, 1, vcc_lo
	v_cmp_eq_u32_e32 vcc_lo, 0x40f, v15
	v_sub_nc_u32_e32 v15, 0x3f1, v23
	v_and_or_b32 v9, 0xffe, v22, v9
	v_cndmask_b32_e32 v13, v16, v13, vcc_lo
	v_cmp_lt_i32_e32 vcc_lo, 5, v20
	v_med3_i32 v15, v15, 0, 13
	v_lshrrev_b32_e32 v16, 16, v3
	v_or_b32_e32 v20, 0x1000, v9
	v_and_or_b32 v25, 0x8000, v14, v13
	s_or_b32 vcc_lo, s0, vcc_lo
	v_add_co_ci_u32_e32 v18, vcc_lo, 0, v18, vcc_lo
	v_cmp_ne_u32_e32 vcc_lo, 0, v19
	v_lshrrev_b32_e32 v24, v15, v20
	v_mul_f16_sdwa v22, v45, v16 dst_sel:DWORD dst_unused:UNUSED_PAD src0_sel:WORD_1 src1_sel:DWORD
	v_and_or_b32 v11, 0x1ff, v12, v11
	v_cndmask_b32_e64 v19, 0, 1, vcc_lo
	v_cmp_gt_i32_e32 vcc_lo, 31, v21
	v_lshlrev_b32_e32 v15, v15, v24
	v_fmac_f16_e32 v22, v45, v3
	v_mul_f16_sdwa v3, v45, v3 dst_sel:DWORD dst_unused:UNUSED_PAD src0_sel:WORD_1 src1_sel:DWORD
	v_lshl_or_b32 v19, v19, 9, 0x7c00
	v_cndmask_b32_e32 v18, 0x7c00, v18, vcc_lo
	v_cmp_eq_u32_e32 vcc_lo, 0x40f, v21
	v_cvt_f32_f16_e32 v13, v22
	v_bfe_u32 v21, v12, 20, 11
	v_and_b32_e32 v22, 0xffff, v25
	v_fma_f16 v3, v45, v16, -v3
	v_cndmask_b32_e32 v18, v18, v19, vcc_lo
	v_cmp_ne_u32_e32 vcc_lo, v15, v20
	v_cvt_f64_f32_e32 v[13:14], v13
	v_add_nc_u32_e32 v19, 0xfffffc10, v23
	v_lshrrev_b32_e32 v20, 8, v12
	v_and_or_b32 v6, 0x8000, v6, v18
	v_cndmask_b32_e64 v15, 0, 1, vcc_lo
	v_cmp_ne_u32_e32 vcc_lo, 0, v11
	v_lshl_or_b32 v18, v19, 12, v9
	v_lshl_or_b32 v17, v6, 16, v22
	v_or_b32_e32 v15, v24, v15
	v_cndmask_b32_e64 v11, 0, 1, vcc_lo
	v_cmp_gt_i32_e32 vcc_lo, 1, v19
	v_and_or_b32 v11, 0xffe, v20, v11
	v_sub_nc_u32_e32 v20, 0x3f1, v21
	v_cndmask_b32_e32 v15, v18, v15, vcc_lo
	v_add_co_u32 v4, vcc_lo, v4, s3
	v_or_b32_e32 v18, 0x1000, v11
	v_med3_i32 v20, v20, 0, 13
	v_and_b32_e32 v2, 7, v15
	v_mul_f64 v[6:7], v[13:14], s[4:5]
	v_add_co_ci_u32_e32 v5, vcc_lo, s2, v5, vcc_lo
	v_lshrrev_b32_e32 v8, v20, v18
	v_cmp_lt_i32_e32 vcc_lo, 5, v2
	v_cmp_eq_u32_e64 s0, 3, v2
	v_lshrrev_b32_e32 v2, 2, v15
	v_add_nc_u32_e32 v14, 0xfffffc10, v21
	v_lshlrev_b32_e32 v13, v20, v8
	global_store_dword v[4:5], v17, off
	s_or_b32 vcc_lo, s0, vcc_lo
	v_add_co_ci_u32_e32 v15, vcc_lo, 0, v2, vcc_lo
	v_cmp_ne_u32_e64 s1, v13, v18
	v_cmp_ne_u32_e32 vcc_lo, 0, v9
	v_cvt_f32_f16_e32 v2, v3
	v_cndmask_b32_e64 v13, 0, 1, s1
	v_cndmask_b32_e64 v16, 0, 1, vcc_lo
	v_cmp_gt_i32_e32 vcc_lo, 1, v14
	v_cvt_f64_f32_e32 v[2:3], v2
	v_and_or_b32 v6, 0x1ff, v7, v6
	v_or_b32_e32 v8, v8, v13
	v_lshl_or_b32 v13, v14, 12, v11
	v_bfe_u32 v20, v7, 20, 11
	v_lshrrev_b32_e32 v18, 8, v7
	v_cndmask_b32_e32 v13, v13, v8, vcc_lo
	v_cmp_gt_i32_e32 vcc_lo, 31, v19
	ds_read2_b32 v[8:9], v1 offset0:56 offset1:134
	v_cndmask_b32_e32 v1, 0x7c00, v15, vcc_lo
	v_cmp_ne_u32_e32 vcc_lo, 0, v6
	v_lshl_or_b32 v15, v16, 9, 0x7c00
	v_and_b32_e32 v16, 7, v13
	v_cndmask_b32_e64 v6, 0, 1, vcc_lo
	v_cmp_eq_u32_e32 vcc_lo, 0x40f, v19
	v_cmp_eq_u32_e64 s0, 3, v16
	v_and_or_b32 v18, 0xffe, v18, v6
	v_cndmask_b32_e32 v15, v1, v15, vcc_lo
	v_sub_nc_u32_e32 v1, 0x3f1, v20
	v_cmp_lt_i32_e32 vcc_lo, 5, v16
	v_lshrrev_b32_e32 v6, 2, v13
	v_or_b32_e32 v13, 0x1000, v18
	s_waitcnt lgkmcnt(0)
	v_lshrrev_b32_e32 v19, 16, v8
	v_med3_i32 v16, v1, 0, 13
	v_mul_f64 v[1:2], v[2:3], s[4:5]
	s_or_b32 vcc_lo, s0, vcc_lo
	v_and_or_b32 v15, 0x8000, v10, v15
	v_add_co_ci_u32_e32 v3, vcc_lo, 0, v6, vcc_lo
	v_cmp_ne_u32_e32 vcc_lo, 0, v11
	v_lshrrev_b32_e32 v21, v16, v13
	v_mul_f16_sdwa v11, v44, v19 dst_sel:DWORD dst_unused:UNUSED_PAD src0_sel:WORD_1 src1_sel:DWORD
	v_and_b32_e32 v15, 0xffff, v15
	v_cndmask_b32_e64 v6, 0, 1, vcc_lo
	v_cmp_gt_i32_e32 vcc_lo, 31, v14
	v_lshlrev_b32_e32 v10, v16, v21
	v_fmac_f16_e32 v11, v44, v8
	v_mul_f16_sdwa v8, v44, v8 dst_sel:DWORD dst_unused:UNUSED_PAD src0_sel:WORD_1 src1_sel:DWORD
	v_lshl_or_b32 v6, v6, 9, 0x7c00
	v_cndmask_b32_e32 v3, 0x7c00, v3, vcc_lo
	v_cmp_eq_u32_e32 vcc_lo, 0x40f, v14
	v_cvt_f32_f16_e32 v11, v11
	v_fma_f16 v8, v44, v19, -v8
	v_cndmask_b32_e32 v3, v3, v6, vcc_lo
	v_cmp_ne_u32_e32 vcc_lo, v10, v13
	v_and_or_b32 v1, 0x1ff, v2, v1
	v_lshrrev_b32_e32 v6, 16, v12
	v_cvt_f64_f32_e32 v[10:11], v11
	v_add_nc_u32_e32 v13, 0xfffffc10, v20
	v_cndmask_b32_e64 v12, 0, 1, vcc_lo
	v_cmp_ne_u32_e32 vcc_lo, 0, v1
	v_lshrrev_b32_e32 v14, 8, v2
	v_bfe_u32 v16, v2, 20, 11
	v_and_or_b32 v3, 0x8000, v6, v3
	v_or_b32_e32 v6, v21, v12
	v_cndmask_b32_e64 v1, 0, 1, vcc_lo
	v_lshl_or_b32 v12, v13, 12, v18
	v_cmp_gt_i32_e32 vcc_lo, 1, v13
	v_lshl_or_b32 v15, v3, 16, v15
	v_cvt_f32_f16_e32 v8, v8
	v_and_or_b32 v14, 0xffe, v14, v1
	v_sub_nc_u32_e32 v1, 0x3f1, v16
	v_cndmask_b32_e32 v12, v12, v6, vcc_lo
	v_add_co_u32 v3, vcc_lo, v4, s7
	v_or_b32_e32 v20, 0x1000, v14
	v_med3_i32 v1, v1, 0, 13
	v_and_b32_e32 v17, 7, v12
	v_add_co_ci_u32_e32 v4, vcc_lo, s6, v5, vcc_lo
	v_mul_f64 v[5:6], v[10:11], s[4:5]
	v_lshrrev_b32_e32 v21, v1, v20
	v_cmp_lt_i32_e32 vcc_lo, 5, v17
	v_cmp_eq_u32_e64 s0, 3, v17
	v_lshrrev_b32_e32 v10, 2, v12
	global_store_dword v[3:4], v15, off
	v_lshlrev_b32_e32 v1, v1, v21
	v_add_nc_u32_e32 v16, 0xfffffc10, v16
	s_or_b32 vcc_lo, s0, vcc_lo
	v_lshrrev_b32_e32 v2, 16, v2
	v_add_co_ci_u32_e32 v12, vcc_lo, 0, v10, vcc_lo
	v_cmp_ne_u32_e32 vcc_lo, v1, v20
	ds_read2_b32 v[0:1], v0 offset0:12 offset1:90
	v_cvt_f64_f32_e32 v[10:11], v8
	v_cndmask_b32_e64 v15, 0, 1, vcc_lo
	v_cmp_ne_u32_e32 vcc_lo, 0, v18
	v_or_b32_e32 v8, v21, v15
	v_cndmask_b32_e64 v17, 0, 1, vcc_lo
	v_cmp_gt_i32_e32 vcc_lo, 31, v13
	v_lshl_or_b32 v15, v16, 12, v14
	v_and_or_b32 v5, 0x1ff, v6, v5
	v_bfe_u32 v18, v6, 20, 11
	v_lshl_or_b32 v17, v17, 9, 0x7c00
	v_cndmask_b32_e32 v12, 0x7c00, v12, vcc_lo
	v_cmp_gt_i32_e32 vcc_lo, 1, v16
	v_sub_nc_u32_e32 v19, 0x3f1, v18
	s_waitcnt lgkmcnt(0)
	v_lshrrev_b32_e32 v20, 16, v0
	v_add_nc_u32_e32 v18, 0xfffffc10, v18
	v_cndmask_b32_e32 v15, v15, v8, vcc_lo
	v_cmp_ne_u32_e32 vcc_lo, 0, v5
	v_lshrrev_b32_e32 v8, 8, v6
	v_lshrrev_b32_e32 v6, 16, v6
	v_cndmask_b32_e64 v5, 0, 1, vcc_lo
	v_cmp_eq_u32_e32 vcc_lo, 0x40f, v13
	v_and_b32_e32 v13, 7, v15
	v_cndmask_b32_e32 v12, v12, v17, vcc_lo
	v_and_or_b32 v17, 0xffe, v8, v5
	v_lshrrev_b32_e32 v5, 16, v7
	v_cmp_lt_i32_e32 vcc_lo, 5, v13
	v_cmp_eq_u32_e64 s0, 3, v13
	v_mul_f64 v[7:8], v[10:11], s[4:5]
	v_or_b32_e32 v21, 0x1000, v17
	v_and_or_b32 v5, 0x8000, v5, v12
	v_lshrrev_b32_e32 v12, 2, v15
	v_med3_i32 v10, v19, 0, 13
	v_mul_f16_sdwa v11, v43, v20 dst_sel:DWORD dst_unused:UNUSED_PAD src0_sel:WORD_1 src1_sel:DWORD
	s_or_b32 vcc_lo, s0, vcc_lo
	v_and_b32_e32 v5, 0xffff, v5
	v_add_co_ci_u32_e32 v12, vcc_lo, 0, v12, vcc_lo
	v_lshrrev_b32_e32 v13, v10, v21
	v_cmp_ne_u32_e32 vcc_lo, 0, v14
	v_fmac_f16_e32 v11, v43, v0
	v_mul_f16_sdwa v0, v43, v0 dst_sel:DWORD dst_unused:UNUSED_PAD src0_sel:WORD_1 src1_sel:DWORD
	v_lshlrev_b32_e32 v15, v10, v13
	v_cndmask_b32_e64 v14, 0, 1, vcc_lo
	v_cmp_gt_i32_e32 vcc_lo, 31, v16
	v_cvt_f32_f16_e32 v11, v11
	v_fma_f16 v0, v43, v20, -v0
	v_lshl_or_b32 v14, v14, 9, 0x7c00
	v_cndmask_b32_e32 v12, 0x7c00, v12, vcc_lo
	v_cmp_ne_u32_e32 vcc_lo, v15, v21
	v_cvt_f64_f32_e32 v[10:11], v11
	v_and_or_b32 v7, 0x1ff, v8, v7
	v_cvt_f32_f16_e32 v0, v0
	v_cndmask_b32_e64 v15, 0, 1, vcc_lo
	v_cmp_eq_u32_e32 vcc_lo, 0x40f, v16
	v_bfe_u32 v16, v8, 20, 11
	v_or_b32_e32 v13, v13, v15
	v_cndmask_b32_e32 v12, v12, v14, vcc_lo
	v_cmp_ne_u32_e32 vcc_lo, 0, v7
	v_lshl_or_b32 v14, v18, 12, v17
	v_lshrrev_b32_e32 v15, 8, v8
	v_lshrrev_b32_e32 v8, 16, v8
	v_and_or_b32 v2, 0x8000, v2, v12
	v_cndmask_b32_e64 v7, 0, 1, vcc_lo
	v_cmp_gt_i32_e32 vcc_lo, 1, v18
	v_lshl_or_b32 v19, v2, 16, v5
	v_add_co_u32 v2, s1, v3, s3
	v_cndmask_b32_e32 v13, v14, v13, vcc_lo
	v_and_or_b32 v14, 0xffe, v15, v7
	v_sub_nc_u32_e32 v7, 0x3f1, v16
	v_mul_f64 v[10:11], v[10:11], s[4:5]
	v_add_co_ci_u32_e64 v3, s1, s2, v4, s1
	v_and_b32_e32 v12, 7, v13
	v_or_b32_e32 v15, 0x1000, v14
	v_med3_i32 v7, v7, 0, 13
	v_lshrrev_b32_e32 v4, 2, v13
	v_cmp_lt_i32_e32 vcc_lo, 5, v12
	v_cmp_eq_u32_e64 s0, 3, v12
	v_lshrrev_b32_e32 v12, v7, v15
	s_or_b32 vcc_lo, s0, vcc_lo
	v_lshlrev_b32_e32 v5, v7, v12
	v_add_co_ci_u32_e32 v7, vcc_lo, 0, v4, vcc_lo
	v_cmp_ne_u32_e32 vcc_lo, v5, v15
	v_cvt_f64_f32_e32 v[4:5], v0
	v_and_or_b32 v10, 0x1ff, v11, v10
	v_add_nc_u32_e32 v0, 0xfffffc10, v16
	v_lshrrev_b32_e32 v15, 8, v11
	v_cndmask_b32_e64 v13, 0, 1, vcc_lo
	v_cmp_gt_i32_e32 vcc_lo, 31, v18
	v_bfe_u32 v16, v11, 20, 11
	v_or_b32_e32 v12, v12, v13
	v_cndmask_b32_e32 v7, 0x7c00, v7, vcc_lo
	v_cmp_ne_u32_e32 vcc_lo, 0, v10
	v_lshl_or_b32 v13, v0, 12, v14
	v_cndmask_b32_e64 v10, 0, 1, vcc_lo
	v_cmp_ne_u32_e32 vcc_lo, 0, v17
	v_and_or_b32 v10, 0xffe, v15, v10
	v_cndmask_b32_e64 v17, 0, 1, vcc_lo
	v_cmp_gt_i32_e32 vcc_lo, 1, v0
	v_mul_f64 v[4:5], v[4:5], s[4:5]
	v_or_b32_e32 v21, 0x1000, v10
	v_lshl_or_b32 v15, v17, 9, 0x7c00
	v_cndmask_b32_e32 v12, v13, v12, vcc_lo
	v_sub_nc_u32_e32 v13, 0x3f1, v16
	v_cmp_eq_u32_e32 vcc_lo, 0x40f, v18
	v_lshrrev_b32_e32 v17, 16, v9
	v_add_nc_u32_e32 v16, 0xfffffc10, v16
	v_and_b32_e32 v20, 7, v12
	v_med3_i32 v13, v13, 0, 13
	v_cndmask_b32_e32 v7, v7, v15, vcc_lo
	v_mul_f16_sdwa v22, v42, v17 dst_sel:DWORD dst_unused:UNUSED_PAD src0_sel:WORD_1 src1_sel:DWORD
	v_cmp_lt_i32_e32 vcc_lo, 5, v20
	v_lshrrev_b32_e32 v15, v13, v21
	v_cmp_eq_u32_e64 s0, 3, v20
	v_and_or_b32 v18, 0x8000, v6, v7
	v_lshrrev_b32_e32 v6, 2, v12
	v_fmac_f16_e32 v22, v42, v9
	v_lshlrev_b32_e32 v7, v13, v15
	s_or_b32 vcc_lo, s0, vcc_lo
	v_and_or_b32 v4, 0x1ff, v5, v4
	v_add_co_ci_u32_e32 v13, vcc_lo, 0, v6, vcc_lo
	v_cmp_ne_u32_e32 vcc_lo, v7, v21
	v_cvt_f32_f16_e32 v12, v22
	v_mul_f16_sdwa v9, v42, v9 dst_sel:DWORD dst_unused:UNUSED_PAD src0_sel:WORD_1 src1_sel:DWORD
	v_cndmask_b32_e64 v20, 0, 1, vcc_lo
	v_cmp_ne_u32_e32 vcc_lo, 0, v14
	v_cvt_f64_f32_e32 v[6:7], v12
	v_fma_f16 v9, v42, v17, -v9
	v_or_b32_e32 v14, v15, v20
	v_cndmask_b32_e64 v12, 0, 1, vcc_lo
	v_cmp_gt_i32_e32 vcc_lo, 31, v0
	v_lshl_or_b32 v15, v16, 12, v10
	v_bfe_u32 v20, v5, 20, 11
	v_lshl_or_b32 v12, v12, 9, 0x7c00
	v_cndmask_b32_e32 v13, 0x7c00, v13, vcc_lo
	v_cmp_gt_i32_e32 vcc_lo, 1, v16
	v_cndmask_b32_e32 v14, v15, v14, vcc_lo
	v_cmp_ne_u32_e32 vcc_lo, 0, v4
	v_lshrrev_b32_e32 v15, 8, v5
	v_and_b32_e32 v21, 7, v14
	v_cndmask_b32_e64 v4, 0, 1, vcc_lo
	v_cmp_eq_u32_e32 vcc_lo, 0x40f, v0
	v_mul_f64 v[6:7], v[6:7], s[4:5]
	v_cmp_eq_u32_e64 s0, 3, v21
	v_and_or_b32 v4, 0xffe, v15, v4
	v_cndmask_b32_e32 v0, v13, v12, vcc_lo
	v_sub_nc_u32_e32 v12, 0x3f1, v20
	v_cmp_lt_i32_e32 vcc_lo, 5, v21
	v_or_b32_e32 v13, 0x1000, v4
	v_and_or_b32 v0, 0x8000, v8, v0
	v_lshrrev_b32_e32 v8, 2, v14
	v_med3_i32 v12, v12, 0, 13
	s_or_b32 vcc_lo, s0, vcc_lo
	v_and_b32_e32 v14, 0xffff, v18
	v_add_nc_u32_e32 v18, 0xfffffc10, v20
	v_add_co_ci_u32_e32 v8, vcc_lo, 0, v8, vcc_lo
	v_lshrrev_b32_e32 v15, v12, v13
	v_cmp_ne_u32_e32 vcc_lo, 0, v10
	v_lshl_or_b32 v14, v0, 16, v14
	v_lshlrev_b32_e32 v0, v12, v15
	v_cndmask_b32_e64 v10, 0, 1, vcc_lo
	v_cmp_gt_i32_e32 vcc_lo, 31, v16
	v_and_or_b32 v6, 0x1ff, v7, v6
	v_lshl_or_b32 v10, v10, 9, 0x7c00
	v_cndmask_b32_e32 v8, 0x7c00, v8, vcc_lo
	v_cmp_ne_u32_e32 vcc_lo, v0, v13
	v_lshrrev_b32_e32 v13, 8, v7
	v_cndmask_b32_e64 v0, 0, 1, vcc_lo
	v_cmp_eq_u32_e32 vcc_lo, 0x40f, v16
	v_lshrrev_b32_e32 v16, 16, v1
	v_or_b32_e32 v0, v15, v0
	v_cndmask_b32_e32 v12, v8, v10, vcc_lo
	v_cmp_ne_u32_e32 vcc_lo, 0, v6
	v_cvt_f32_f16_e32 v8, v9
	v_lshl_or_b32 v10, v18, 12, v4
	v_bfe_u32 v15, v7, 20, 11
	v_mul_f16_sdwa v22, v41, v16 dst_sel:DWORD dst_unused:UNUSED_PAD src0_sel:WORD_1 src1_sel:DWORD
	v_cndmask_b32_e64 v6, 0, 1, vcc_lo
	v_cmp_gt_i32_e32 vcc_lo, 1, v18
	v_cvt_f64_f32_e32 v[8:9], v8
	v_lshrrev_b32_e32 v7, 16, v7
	v_fmac_f16_e32 v22, v41, v1
	v_and_or_b32 v6, 0xffe, v13, v6
	v_cndmask_b32_e32 v0, v10, v0, vcc_lo
	v_sub_nc_u32_e32 v10, 0x3f1, v15
	v_lshrrev_b32_e32 v13, 16, v11
	v_add_nc_u32_e32 v15, 0xfffffc10, v15
	v_or_b32_e32 v20, 0x1000, v6
	v_and_b32_e32 v17, 7, v0
	v_med3_i32 v21, v10, 0, 13
	v_add_co_u32 v10, vcc_lo, v2, s7
	v_add_co_ci_u32_e32 v11, vcc_lo, s6, v3, vcc_lo
	v_lshrrev_b32_e32 v24, v21, v20
	v_cmp_lt_i32_e32 vcc_lo, 5, v17
	v_cmp_eq_u32_e64 s0, 3, v17
	v_lshrrev_b32_e32 v0, 2, v0
	v_and_or_b32 v23, 0x8000, v13, v12
	v_lshlrev_b32_e32 v17, v21, v24
	v_cvt_f32_f16_e32 v12, v22
	s_or_b32 vcc_lo, s0, vcc_lo
	v_mul_f64 v[8:9], v[8:9], s[4:5]
	v_add_co_ci_u32_e32 v0, vcc_lo, 0, v0, vcc_lo
	v_cmp_ne_u32_e32 vcc_lo, v17, v20
	v_cvt_f64_f32_e32 v[12:13], v12
	v_mul_f16_sdwa v1, v41, v1 dst_sel:DWORD dst_unused:UNUSED_PAD src0_sel:WORD_1 src1_sel:DWORD
	v_lshl_or_b32 v20, v15, 12, v6
	v_cndmask_b32_e64 v17, 0, 1, vcc_lo
	v_cmp_ne_u32_e32 vcc_lo, 0, v4
	v_fma_f16 v1, v41, v16, -v1
	v_or_b32_e32 v17, v24, v17
	v_cndmask_b32_e64 v4, 0, 1, vcc_lo
	v_cmp_gt_i32_e32 vcc_lo, 31, v18
	v_cvt_f32_f16_e32 v1, v1
	v_lshl_or_b32 v4, v4, 9, 0x7c00
	v_cndmask_b32_e32 v0, 0x7c00, v0, vcc_lo
	v_cmp_gt_i32_e32 vcc_lo, 1, v15
	v_and_or_b32 v8, 0x1ff, v9, v8
	v_cndmask_b32_e32 v16, v20, v17, vcc_lo
	v_cmp_eq_u32_e32 vcc_lo, 0x40f, v18
	v_lshrrev_b32_e32 v18, 16, v5
	v_and_b32_e32 v20, 7, v16
	v_cndmask_b32_e32 v17, v0, v4, vcc_lo
	v_mul_f64 v[4:5], v[12:13], s[4:5]
	v_cvt_f64_f32_e32 v[0:1], v1
	v_cmp_ne_u32_e32 vcc_lo, 0, v8
	v_lshrrev_b32_e32 v12, 8, v9
	v_bfe_u32 v13, v9, 20, 11
	v_cmp_eq_u32_e64 s0, 3, v20
	v_lshrrev_b32_e32 v16, 2, v16
	v_cndmask_b32_e64 v8, 0, 1, vcc_lo
	v_cmp_lt_i32_e32 vcc_lo, 5, v20
	v_and_or_b32 v17, 0x8000, v18, v17
	v_and_b32_e32 v18, 0xffff, v23
	v_lshrrev_b32_e32 v9, 16, v9
	v_and_or_b32 v8, 0xffe, v12, v8
	v_sub_nc_u32_e32 v12, 0x3f1, v13
	s_or_b32 vcc_lo, s0, vcc_lo
	v_lshl_or_b32 v17, v17, 16, v18
	v_add_co_ci_u32_e32 v16, vcc_lo, 0, v16, vcc_lo
	v_or_b32_e32 v18, 0x1000, v8
	v_med3_i32 v12, v12, 0, 13
	v_cmp_ne_u32_e32 vcc_lo, 0, v6
	v_add_nc_u32_e32 v13, 0xfffffc10, v13
	v_and_or_b32 v4, 0x1ff, v5, v4
	v_mul_f64 v[0:1], v[0:1], s[4:5]
	v_lshrrev_b32_e32 v20, v12, v18
	v_cndmask_b32_e64 v6, 0, 1, vcc_lo
	v_cmp_gt_i32_e32 vcc_lo, 31, v15
	v_lshrrev_b32_e32 v21, 8, v5
	v_bfe_u32 v22, v5, 20, 11
	v_lshlrev_b32_e32 v12, v12, v20
	v_lshl_or_b32 v6, v6, 9, 0x7c00
	v_cndmask_b32_e32 v16, 0x7c00, v16, vcc_lo
	v_cmp_ne_u32_e32 vcc_lo, 0, v4
	v_lshrrev_b32_e32 v5, 16, v5
	v_cndmask_b32_e64 v4, 0, 1, vcc_lo
	v_cmp_ne_u32_e32 vcc_lo, v12, v18
	v_sub_nc_u32_e32 v18, 0x3f1, v22
	v_and_or_b32 v4, 0xffe, v21, v4
	v_cndmask_b32_e64 v12, 0, 1, vcc_lo
	v_cmp_eq_u32_e32 vcc_lo, 0x40f, v15
	v_lshl_or_b32 v15, v13, 12, v8
	v_med3_i32 v18, v18, 0, 13
	v_and_or_b32 v0, 0x1ff, v1, v0
	v_or_b32_e32 v12, v20, v12
	v_cndmask_b32_e32 v6, v16, v6, vcc_lo
	v_or_b32_e32 v16, 0x1000, v4
	v_cmp_gt_i32_e32 vcc_lo, 1, v13
	v_lshrrev_b32_e32 v20, 8, v1
	v_bfe_u32 v21, v1, 20, 11
	v_and_or_b32 v6, 0x8000, v7, v6
	v_cndmask_b32_e32 v12, v15, v12, vcc_lo
	v_lshrrev_b32_e32 v15, v18, v16
	v_cmp_ne_u32_e32 vcc_lo, 0, v0
	v_sub_nc_u32_e32 v7, 0x3f1, v21
	v_and_b32_e32 v6, 0xffff, v6
	v_and_b32_e32 v23, 7, v12
	v_lshlrev_b32_e32 v18, v18, v15
	v_cndmask_b32_e64 v0, 0, 1, vcc_lo
	v_lshrrev_b32_e32 v12, 2, v12
	v_med3_i32 v7, v7, 0, 13
	v_cmp_lt_i32_e32 vcc_lo, 5, v23
	v_cmp_ne_u32_e64 s0, v18, v16
	v_and_or_b32 v0, 0xffe, v20, v0
	v_add_nc_u32_e32 v20, 0xfffffc10, v22
	v_cndmask_b32_e64 v16, 0, 1, s0
	v_cmp_eq_u32_e64 s0, 3, v23
	v_or_b32_e32 v18, 0x1000, v0
	v_lshl_or_b32 v22, v20, 12, v4
	v_or_b32_e32 v15, v15, v16
	s_or_b32 vcc_lo, s0, vcc_lo
	v_lshrrev_b32_e32 v16, v7, v18
	v_add_co_ci_u32_e32 v12, vcc_lo, 0, v12, vcc_lo
	v_cmp_gt_i32_e32 vcc_lo, 1, v20
	v_lshlrev_b32_e32 v7, v7, v16
	v_cndmask_b32_e32 v15, v22, v15, vcc_lo
	v_cmp_ne_u32_e32 vcc_lo, 0, v8
	v_cndmask_b32_e64 v8, 0, 1, vcc_lo
	v_cmp_ne_u32_e32 vcc_lo, v7, v18
	v_add_nc_u32_e32 v18, 0xfffffc10, v21
	v_and_b32_e32 v21, 7, v15
	v_lshl_or_b32 v8, v8, 9, 0x7c00
	v_cndmask_b32_e64 v7, 0, 1, vcc_lo
	v_cmp_gt_i32_e32 vcc_lo, 31, v13
	v_cmp_gt_i32_e64 s1, 1, v18
	v_cmp_eq_u32_e64 s0, 3, v21
	v_or_b32_e32 v7, v16, v7
	v_lshl_or_b32 v16, v18, 12, v0
	v_cndmask_b32_e32 v12, 0x7c00, v12, vcc_lo
	v_cmp_lt_i32_e32 vcc_lo, 5, v21
	v_cndmask_b32_e64 v7, v16, v7, s1
	v_cmp_eq_u32_e64 s1, 0x40f, v13
	s_or_b32 vcc_lo, s0, vcc_lo
	v_and_b32_e32 v13, 7, v7
	v_cndmask_b32_e64 v8, v12, v8, s1
	v_lshrrev_b32_e32 v12, 2, v15
	v_lshrrev_b32_e32 v7, 2, v7
	v_cmp_gt_i32_e64 s1, 31, v20
	v_cmp_eq_u32_e64 s0, 3, v13
	v_and_or_b32 v8, 0x8000, v9, v8
	v_add_co_ci_u32_e32 v12, vcc_lo, 0, v12, vcc_lo
	v_cmp_ne_u32_e32 vcc_lo, 0, v4
	v_lshl_or_b32 v8, v8, 16, v6
	v_cndmask_b32_e64 v12, 0x7c00, v12, s1
	v_cndmask_b32_e64 v4, 0, 1, vcc_lo
	v_cmp_lt_i32_e32 vcc_lo, 5, v13
	v_lshl_or_b32 v4, v4, 9, 0x7c00
	s_or_b32 vcc_lo, s0, vcc_lo
	v_add_co_ci_u32_e32 v7, vcc_lo, 0, v7, vcc_lo
	v_cmp_ne_u32_e32 vcc_lo, 0, v0
	v_cndmask_b32_e64 v0, 0, 1, vcc_lo
	v_cmp_eq_u32_e32 vcc_lo, 0x40f, v20
	v_lshl_or_b32 v0, v0, 9, 0x7c00
	v_cndmask_b32_e32 v4, v12, v4, vcc_lo
	v_cmp_gt_i32_e32 vcc_lo, 31, v18
	v_and_or_b32 v4, 0x8000, v5, v4
	v_cndmask_b32_e32 v7, 0x7c00, v7, vcc_lo
	v_cmp_eq_u32_e32 vcc_lo, 0x40f, v18
	v_cndmask_b32_e32 v5, v7, v0, vcc_lo
	v_lshrrev_b32_e32 v7, 16, v1
	v_add_co_u32 v0, vcc_lo, v10, s3
	v_add_co_ci_u32_e32 v1, vcc_lo, s2, v11, vcc_lo
	v_and_or_b32 v6, 0x8000, v7, v5
	v_and_b32_e32 v7, 0xffff, v4
	v_add_co_u32 v4, vcc_lo, v0, s7
	v_add_co_ci_u32_e32 v5, vcc_lo, s6, v1, vcc_lo
	v_lshl_or_b32 v9, v6, 16, v7
	v_add_co_u32 v6, vcc_lo, v4, s3
	v_add_co_ci_u32_e32 v7, vcc_lo, s2, v5, vcc_lo
	global_store_dword v[2:3], v19, off
	global_store_dword v[10:11], v14, off
	;; [unrolled: 1-line block ×5, first 2 shown]
.LBB0_10:
	s_endpgm
	.section	.rodata,"a",@progbits
	.p2align	6, 0x0
	.amdhsa_kernel bluestein_single_back_len936_dim1_half_op_CI_CI
		.amdhsa_group_segment_fixed_size 11232
		.amdhsa_private_segment_fixed_size 0
		.amdhsa_kernarg_size 104
		.amdhsa_user_sgpr_count 6
		.amdhsa_user_sgpr_private_segment_buffer 1
		.amdhsa_user_sgpr_dispatch_ptr 0
		.amdhsa_user_sgpr_queue_ptr 0
		.amdhsa_user_sgpr_kernarg_segment_ptr 1
		.amdhsa_user_sgpr_dispatch_id 0
		.amdhsa_user_sgpr_flat_scratch_init 0
		.amdhsa_user_sgpr_private_segment_size 0
		.amdhsa_wavefront_size32 1
		.amdhsa_uses_dynamic_stack 0
		.amdhsa_system_sgpr_private_segment_wavefront_offset 0
		.amdhsa_system_sgpr_workgroup_id_x 1
		.amdhsa_system_sgpr_workgroup_id_y 0
		.amdhsa_system_sgpr_workgroup_id_z 0
		.amdhsa_system_sgpr_workgroup_info 0
		.amdhsa_system_vgpr_workitem_id 0
		.amdhsa_next_free_vgpr 181
		.amdhsa_next_free_sgpr 20
		.amdhsa_reserve_vcc 1
		.amdhsa_reserve_flat_scratch 0
		.amdhsa_float_round_mode_32 0
		.amdhsa_float_round_mode_16_64 0
		.amdhsa_float_denorm_mode_32 3
		.amdhsa_float_denorm_mode_16_64 3
		.amdhsa_dx10_clamp 1
		.amdhsa_ieee_mode 1
		.amdhsa_fp16_overflow 0
		.amdhsa_workgroup_processor_mode 1
		.amdhsa_memory_ordered 1
		.amdhsa_forward_progress 0
		.amdhsa_shared_vgpr_count 0
		.amdhsa_exception_fp_ieee_invalid_op 0
		.amdhsa_exception_fp_denorm_src 0
		.amdhsa_exception_fp_ieee_div_zero 0
		.amdhsa_exception_fp_ieee_overflow 0
		.amdhsa_exception_fp_ieee_underflow 0
		.amdhsa_exception_fp_ieee_inexact 0
		.amdhsa_exception_int_div_zero 0
	.end_amdhsa_kernel
	.text
.Lfunc_end0:
	.size	bluestein_single_back_len936_dim1_half_op_CI_CI, .Lfunc_end0-bluestein_single_back_len936_dim1_half_op_CI_CI
                                        ; -- End function
	.section	.AMDGPU.csdata,"",@progbits
; Kernel info:
; codeLenInByte = 23056
; NumSgprs: 22
; NumVgprs: 181
; ScratchSize: 0
; MemoryBound: 0
; FloatMode: 240
; IeeeMode: 1
; LDSByteSize: 11232 bytes/workgroup (compile time only)
; SGPRBlocks: 2
; VGPRBlocks: 22
; NumSGPRsForWavesPerEU: 22
; NumVGPRsForWavesPerEU: 181
; Occupancy: 5
; WaveLimiterHint : 1
; COMPUTE_PGM_RSRC2:SCRATCH_EN: 0
; COMPUTE_PGM_RSRC2:USER_SGPR: 6
; COMPUTE_PGM_RSRC2:TRAP_HANDLER: 0
; COMPUTE_PGM_RSRC2:TGID_X_EN: 1
; COMPUTE_PGM_RSRC2:TGID_Y_EN: 0
; COMPUTE_PGM_RSRC2:TGID_Z_EN: 0
; COMPUTE_PGM_RSRC2:TIDIG_COMP_CNT: 0
	.text
	.p2alignl 6, 3214868480
	.fill 48, 4, 3214868480
	.type	__hip_cuid_4ca64826c86b446,@object ; @__hip_cuid_4ca64826c86b446
	.section	.bss,"aw",@nobits
	.globl	__hip_cuid_4ca64826c86b446
__hip_cuid_4ca64826c86b446:
	.byte	0                               ; 0x0
	.size	__hip_cuid_4ca64826c86b446, 1

	.ident	"AMD clang version 19.0.0git (https://github.com/RadeonOpenCompute/llvm-project roc-6.4.0 25133 c7fe45cf4b819c5991fe208aaa96edf142730f1d)"
	.section	".note.GNU-stack","",@progbits
	.addrsig
	.addrsig_sym __hip_cuid_4ca64826c86b446
	.amdgpu_metadata
---
amdhsa.kernels:
  - .args:
      - .actual_access:  read_only
        .address_space:  global
        .offset:         0
        .size:           8
        .value_kind:     global_buffer
      - .actual_access:  read_only
        .address_space:  global
        .offset:         8
        .size:           8
        .value_kind:     global_buffer
      - .actual_access:  read_only
        .address_space:  global
        .offset:         16
        .size:           8
        .value_kind:     global_buffer
      - .actual_access:  read_only
        .address_space:  global
        .offset:         24
        .size:           8
        .value_kind:     global_buffer
      - .actual_access:  read_only
        .address_space:  global
        .offset:         32
        .size:           8
        .value_kind:     global_buffer
      - .offset:         40
        .size:           8
        .value_kind:     by_value
      - .address_space:  global
        .offset:         48
        .size:           8
        .value_kind:     global_buffer
      - .address_space:  global
        .offset:         56
        .size:           8
        .value_kind:     global_buffer
      - .address_space:  global
        .offset:         64
        .size:           8
        .value_kind:     global_buffer
      - .address_space:  global
        .offset:         72
        .size:           8
        .value_kind:     global_buffer
      - .offset:         80
        .size:           4
        .value_kind:     by_value
      - .address_space:  global
        .offset:         88
        .size:           8
        .value_kind:     global_buffer
      - .address_space:  global
        .offset:         96
        .size:           8
        .value_kind:     global_buffer
    .group_segment_fixed_size: 11232
    .kernarg_segment_align: 8
    .kernarg_segment_size: 104
    .language:       OpenCL C
    .language_version:
      - 2
      - 0
    .max_flat_workgroup_size: 234
    .name:           bluestein_single_back_len936_dim1_half_op_CI_CI
    .private_segment_fixed_size: 0
    .sgpr_count:     22
    .sgpr_spill_count: 0
    .symbol:         bluestein_single_back_len936_dim1_half_op_CI_CI.kd
    .uniform_work_group_size: 1
    .uses_dynamic_stack: false
    .vgpr_count:     181
    .vgpr_spill_count: 0
    .wavefront_size: 32
    .workgroup_processor_mode: 1
amdhsa.target:   amdgcn-amd-amdhsa--gfx1030
amdhsa.version:
  - 1
  - 2
...

	.end_amdgpu_metadata
